;; amdgpu-corpus repo=ROCm/rocFFT kind=compiled arch=gfx906 opt=O3
	.text
	.amdgcn_target "amdgcn-amd-amdhsa--gfx906"
	.amdhsa_code_object_version 6
	.protected	bluestein_single_back_len825_dim1_half_op_CI_CI ; -- Begin function bluestein_single_back_len825_dim1_half_op_CI_CI
	.globl	bluestein_single_back_len825_dim1_half_op_CI_CI
	.p2align	8
	.type	bluestein_single_back_len825_dim1_half_op_CI_CI,@function
bluestein_single_back_len825_dim1_half_op_CI_CI: ; @bluestein_single_back_len825_dim1_half_op_CI_CI
; %bb.0:
	s_load_dwordx4 s[8:11], s[4:5], 0x28
	v_mul_u32_u24_e32 v1, 0x4a8, v0
	v_add_u32_sdwa v22, s6, v1 dst_sel:DWORD dst_unused:UNUSED_PAD src0_sel:DWORD src1_sel:WORD_1
	v_mov_b32_e32 v23, 0
	s_waitcnt lgkmcnt(0)
	v_cmp_gt_u64_e32 vcc, s[8:9], v[22:23]
	s_and_saveexec_b64 s[0:1], vcc
	s_cbranch_execz .LBB0_15
; %bb.1:
	s_load_dwordx4 s[12:15], s[4:5], 0x18
	v_mov_b32_e32 v2, 55
	v_mul_lo_u16_sdwa v1, v1, v2 dst_sel:DWORD dst_unused:UNUSED_PAD src0_sel:WORD_1 src1_sel:DWORD
	v_sub_u16_e32 v64, v0, v1
	v_lshlrev_b32_e32 v53, 2, v64
	s_waitcnt lgkmcnt(0)
	s_load_dwordx4 s[0:3], s[12:13], 0x0
	s_waitcnt lgkmcnt(0)
	v_mad_u64_u32 v[0:1], s[6:7], s2, v22, 0
	v_mad_u64_u32 v[2:3], s[6:7], s0, v64, 0
	s_mul_i32 s6, s1, 0x4b
	s_mul_hi_u32 s7, s0, 0x4b
	v_mad_u64_u32 v[4:5], s[2:3], s3, v22, v[1:2]
	s_add_i32 s7, s7, s6
	s_mul_i32 s6, s0, 0x4b
	v_mad_u64_u32 v[5:6], s[2:3], s1, v64, v[3:4]
	v_mov_b32_e32 v1, v4
	v_lshlrev_b64 v[0:1], 2, v[0:1]
	v_mov_b32_e32 v6, s11
	v_mov_b32_e32 v3, v5
	v_add_co_u32_e32 v4, vcc, s10, v0
	s_load_dwordx2 s[2:3], s[4:5], 0x0
	v_addc_co_u32_e32 v5, vcc, v6, v1, vcc
	v_lshlrev_b64 v[0:1], 2, v[2:3]
	s_lshl_b64 s[12:13], s[6:7], 2
	v_add_co_u32_e32 v0, vcc, v4, v0
	v_addc_co_u32_e32 v1, vcc, v5, v1, vcc
	global_load_dword v2, v[0:1], off
	s_waitcnt lgkmcnt(0)
	global_load_dword v65, v53, s[2:3]
	v_mov_b32_e32 v3, s13
	v_add_co_u32_e32 v0, vcc, s12, v0
	v_addc_co_u32_e32 v1, vcc, v1, v3, vcc
	global_load_dword v4, v[0:1], off
	global_load_dword v63, v53, s[2:3] offset:300
	v_add_co_u32_e32 v0, vcc, s12, v0
	v_addc_co_u32_e32 v1, vcc, v1, v3, vcc
	global_load_dword v5, v[0:1], off
	global_load_dword v62, v53, s[2:3] offset:600
	;; [unrolled: 4-line block ×10, first 2 shown]
	v_mov_b32_e32 v3, s3
	v_add_co_u32_e32 v20, vcc, s2, v53
	v_addc_co_u32_e32 v21, vcc, 0, v3, vcc
	s_load_dwordx2 s[6:7], s[4:5], 0x38
	s_load_dwordx4 s[8:11], s[14:15], 0x0
	v_cmp_gt_u16_e32 vcc, 20, v64
	s_waitcnt vmcnt(21)
	v_lshrrev_b32_e32 v14, 16, v2
	s_waitcnt vmcnt(20)
	v_mul_f16_sdwa v3, v65, v14 dst_sel:DWORD dst_unused:UNUSED_PAD src0_sel:WORD_1 src1_sel:DWORD
	v_fma_f16 v3, v65, v2, v3
	v_mul_f16_sdwa v2, v65, v2 dst_sel:DWORD dst_unused:UNUSED_PAD src0_sel:WORD_1 src1_sel:DWORD
	v_fma_f16 v2, v65, v14, -v2
	v_pack_b32_f16 v2, v3, v2
	s_waitcnt vmcnt(19)
	v_lshrrev_b32_e32 v3, 16, v4
	s_waitcnt vmcnt(18)
	v_mul_f16_sdwa v14, v63, v3 dst_sel:DWORD dst_unused:UNUSED_PAD src0_sel:WORD_1 src1_sel:DWORD
	v_fma_f16 v14, v63, v4, v14
	v_mul_f16_sdwa v4, v63, v4 dst_sel:DWORD dst_unused:UNUSED_PAD src0_sel:WORD_1 src1_sel:DWORD
	v_fma_f16 v3, v63, v3, -v4
	v_pack_b32_f16 v3, v14, v3
	ds_write2_b32 v53, v2, v3 offset1:75
	s_waitcnt vmcnt(17)
	v_lshrrev_b32_e32 v2, 16, v5
	s_waitcnt vmcnt(16)
	v_mul_f16_sdwa v3, v62, v2 dst_sel:DWORD dst_unused:UNUSED_PAD src0_sel:WORD_1 src1_sel:DWORD
	v_mul_f16_sdwa v4, v62, v5 dst_sel:DWORD dst_unused:UNUSED_PAD src0_sel:WORD_1 src1_sel:DWORD
	v_fma_f16 v3, v62, v5, v3
	v_fma_f16 v2, v62, v2, -v4
	v_pack_b32_f16 v2, v3, v2
	s_waitcnt vmcnt(15)
	v_lshrrev_b32_e32 v3, 16, v6
	s_waitcnt vmcnt(14)
	v_mul_f16_sdwa v4, v61, v3 dst_sel:DWORD dst_unused:UNUSED_PAD src0_sel:WORD_1 src1_sel:DWORD
	v_mul_f16_sdwa v5, v61, v6 dst_sel:DWORD dst_unused:UNUSED_PAD src0_sel:WORD_1 src1_sel:DWORD
	v_fma_f16 v4, v61, v6, v4
	v_fma_f16 v3, v61, v3, -v5
	v_pack_b32_f16 v3, v4, v3
	ds_write2_b32 v53, v2, v3 offset0:150 offset1:225
	s_waitcnt vmcnt(13)
	v_lshrrev_b32_e32 v2, 16, v7
	s_waitcnt vmcnt(12)
	v_mul_f16_sdwa v3, v60, v2 dst_sel:DWORD dst_unused:UNUSED_PAD src0_sel:WORD_1 src1_sel:DWORD
	v_mul_f16_sdwa v4, v60, v7 dst_sel:DWORD dst_unused:UNUSED_PAD src0_sel:WORD_1 src1_sel:DWORD
	v_fma_f16 v3, v60, v7, v3
	v_fma_f16 v2, v60, v2, -v4
	v_pack_b32_f16 v3, v3, v2
	s_waitcnt vmcnt(11)
	v_lshrrev_b32_e32 v2, 16, v8
	s_waitcnt vmcnt(10)
	v_mul_f16_sdwa v4, v59, v2 dst_sel:DWORD dst_unused:UNUSED_PAD src0_sel:WORD_1 src1_sel:DWORD
	v_mul_f16_sdwa v5, v59, v8 dst_sel:DWORD dst_unused:UNUSED_PAD src0_sel:WORD_1 src1_sel:DWORD
	v_fma_f16 v4, v59, v8, v4
	v_fma_f16 v2, v59, v2, -v5
	v_pack_b32_f16 v4, v4, v2
	v_add_u32_e32 v2, 0x400, v53
	ds_write2_b32 v2, v3, v4 offset0:44 offset1:119
	s_waitcnt vmcnt(9)
	v_lshrrev_b32_e32 v3, 16, v9
	s_waitcnt vmcnt(8)
	v_mul_f16_sdwa v4, v58, v3 dst_sel:DWORD dst_unused:UNUSED_PAD src0_sel:WORD_1 src1_sel:DWORD
	v_mul_f16_sdwa v5, v58, v9 dst_sel:DWORD dst_unused:UNUSED_PAD src0_sel:WORD_1 src1_sel:DWORD
	v_fma_f16 v4, v58, v9, v4
	v_fma_f16 v3, v58, v3, -v5
	v_pack_b32_f16 v4, v4, v3
	s_waitcnt vmcnt(7)
	v_lshrrev_b32_e32 v3, 16, v10
	s_waitcnt vmcnt(6)
	v_mul_f16_sdwa v5, v57, v3 dst_sel:DWORD dst_unused:UNUSED_PAD src0_sel:WORD_1 src1_sel:DWORD
	v_mul_f16_sdwa v6, v57, v10 dst_sel:DWORD dst_unused:UNUSED_PAD src0_sel:WORD_1 src1_sel:DWORD
	v_fma_f16 v5, v57, v10, v5
	v_fma_f16 v3, v57, v3, -v6
	v_pack_b32_f16 v5, v5, v3
	v_add_u32_e32 v3, 0x600, v53
	;; [unrolled: 18-line block ×3, first 2 shown]
	ds_write2_b32 v4, v5, v6 offset0:88 offset1:163
	s_waitcnt vmcnt(1)
	v_lshrrev_b32_e32 v5, 16, v13
	s_waitcnt vmcnt(0)
	v_mul_f16_sdwa v6, v54, v5 dst_sel:DWORD dst_unused:UNUSED_PAD src0_sel:WORD_1 src1_sel:DWORD
	v_mul_f16_sdwa v7, v54, v13 dst_sel:DWORD dst_unused:UNUSED_PAD src0_sel:WORD_1 src1_sel:DWORD
	v_fma_f16 v6, v54, v13, v6
	v_fma_f16 v5, v54, v5, -v7
	v_pack_b32_f16 v5, v6, v5
	ds_write_b32 v53, v5 offset:3000
	s_and_saveexec_b64 s[14:15], vcc
	s_cbranch_execz .LBB0_3
; %bb.2:
	v_mov_b32_e32 v5, 0xfffff524
	v_mad_u64_u32 v[0:1], s[16:17], s0, v5, v[0:1]
	s_mulk_i32 s1, 0xf524
	s_sub_i32 s0, s1, s0
	v_add_u32_e32 v1, s0, v1
	global_load_dword v5, v[0:1], off
	global_load_dword v6, v[20:21], off offset:220
	v_mov_b32_e32 v7, s13
	v_add_co_u32_e64 v0, s[0:1], s12, v0
	v_addc_co_u32_e64 v1, s[0:1], v1, v7, s[0:1]
	global_load_dword v8, v[0:1], off
	global_load_dword v9, v[20:21], off offset:520
	v_add_co_u32_e64 v0, s[0:1], s12, v0
	v_addc_co_u32_e64 v1, s[0:1], v1, v7, s[0:1]
	global_load_dword v10, v[0:1], off
	global_load_dword v11, v[20:21], off offset:820
	;; [unrolled: 4-line block ×10, first 2 shown]
	s_waitcnt vmcnt(21)
	v_lshrrev_b32_e32 v0, 16, v5
	s_waitcnt vmcnt(20)
	v_mul_f16_sdwa v1, v6, v5 dst_sel:DWORD dst_unused:UNUSED_PAD src0_sel:WORD_1 src1_sel:DWORD
	v_mul_f16_sdwa v30, v6, v0 dst_sel:DWORD dst_unused:UNUSED_PAD src0_sel:WORD_1 src1_sel:DWORD
	v_fma_f16 v0, v6, v0, -v1
	v_fma_f16 v5, v6, v5, v30
	v_pack_b32_f16 v0, v5, v0
	s_waitcnt vmcnt(19)
	v_lshrrev_b32_e32 v1, 16, v8
	s_waitcnt vmcnt(18)
	v_mul_f16_sdwa v31, v9, v8 dst_sel:DWORD dst_unused:UNUSED_PAD src0_sel:WORD_1 src1_sel:DWORD
	v_mul_f16_sdwa v6, v9, v1 dst_sel:DWORD dst_unused:UNUSED_PAD src0_sel:WORD_1 src1_sel:DWORD
	v_fma_f16 v1, v9, v1, -v31
	v_fma_f16 v5, v9, v8, v6
	s_waitcnt vmcnt(17)
	v_lshrrev_b32_e32 v30, 16, v10
	s_waitcnt vmcnt(16)
	v_mul_f16_sdwa v31, v11, v10 dst_sel:DWORD dst_unused:UNUSED_PAD src0_sel:WORD_1 src1_sel:DWORD
	v_mul_f16_sdwa v6, v11, v30 dst_sel:DWORD dst_unused:UNUSED_PAD src0_sel:WORD_1 src1_sel:DWORD
	v_fma_f16 v8, v11, v30, -v31
	v_pack_b32_f16 v1, v5, v1
	s_waitcnt vmcnt(15)
	v_lshrrev_b32_e32 v9, 16, v12
	s_waitcnt vmcnt(14)
	v_mul_f16_sdwa v30, v13, v12 dst_sel:DWORD dst_unused:UNUSED_PAD src0_sel:WORD_1 src1_sel:DWORD
	v_fma_f16 v5, v11, v10, v6
	v_mul_f16_sdwa v6, v13, v9 dst_sel:DWORD dst_unused:UNUSED_PAD src0_sel:WORD_1 src1_sel:DWORD
	ds_write2_b32 v53, v0, v1 offset0:55 offset1:130
	v_pack_b32_f16 v0, v5, v8
	v_fma_f16 v1, v13, v12, v6
	v_fma_f16 v5, v13, v9, -v30
	v_pack_b32_f16 v1, v1, v5
	v_add_u32_e32 v5, 0x200, v53
	ds_write2_b32 v5, v0, v1 offset0:77 offset1:152
	s_waitcnt vmcnt(13)
	v_lshrrev_b32_e32 v0, 16, v14
	s_waitcnt vmcnt(12)
	v_mul_f16_sdwa v1, v15, v0 dst_sel:DWORD dst_unused:UNUSED_PAD src0_sel:WORD_1 src1_sel:DWORD
	v_mul_f16_sdwa v5, v15, v14 dst_sel:DWORD dst_unused:UNUSED_PAD src0_sel:WORD_1 src1_sel:DWORD
	v_fma_f16 v1, v15, v14, v1
	v_fma_f16 v0, v15, v0, -v5
	v_pack_b32_f16 v0, v1, v0
	s_waitcnt vmcnt(11)
	v_lshrrev_b32_e32 v1, 16, v16
	s_waitcnt vmcnt(10)
	v_mul_f16_sdwa v5, v17, v1 dst_sel:DWORD dst_unused:UNUSED_PAD src0_sel:WORD_1 src1_sel:DWORD
	v_mul_f16_sdwa v6, v17, v16 dst_sel:DWORD dst_unused:UNUSED_PAD src0_sel:WORD_1 src1_sel:DWORD
	v_fma_f16 v5, v17, v16, v5
	v_fma_f16 v1, v17, v1, -v6
	v_pack_b32_f16 v1, v5, v1
	ds_write2_b32 v2, v0, v1 offset0:99 offset1:174
	s_waitcnt vmcnt(9)
	v_lshrrev_b32_e32 v0, 16, v18
	s_waitcnt vmcnt(8)
	v_mul_f16_sdwa v1, v19, v0 dst_sel:DWORD dst_unused:UNUSED_PAD src0_sel:WORD_1 src1_sel:DWORD
	v_mul_f16_sdwa v5, v19, v18 dst_sel:DWORD dst_unused:UNUSED_PAD src0_sel:WORD_1 src1_sel:DWORD
	v_fma_f16 v1, v19, v18, v1
	v_fma_f16 v0, v19, v0, -v5
	v_pack_b32_f16 v0, v1, v0
	s_waitcnt vmcnt(7)
	v_lshrrev_b32_e32 v1, 16, v23
	s_waitcnt vmcnt(6)
	v_mul_f16_sdwa v5, v24, v1 dst_sel:DWORD dst_unused:UNUSED_PAD src0_sel:WORD_1 src1_sel:DWORD
	v_mul_f16_sdwa v6, v24, v23 dst_sel:DWORD dst_unused:UNUSED_PAD src0_sel:WORD_1 src1_sel:DWORD
	v_fma_f16 v5, v24, v23, v5
	v_fma_f16 v1, v24, v1, -v6
	v_pack_b32_f16 v1, v5, v1
	;; [unrolled: 17-line block ×3, first 2 shown]
	ds_write2_b32 v4, v0, v1 offset0:143 offset1:218
	s_waitcnt vmcnt(1)
	v_lshrrev_b32_e32 v0, 16, v7
	s_waitcnt vmcnt(0)
	v_mul_f16_sdwa v1, v29, v0 dst_sel:DWORD dst_unused:UNUSED_PAD src0_sel:WORD_1 src1_sel:DWORD
	v_mul_f16_sdwa v5, v29, v7 dst_sel:DWORD dst_unused:UNUSED_PAD src0_sel:WORD_1 src1_sel:DWORD
	v_fma_f16 v1, v29, v7, v1
	v_fma_f16 v0, v29, v0, -v5
	v_pack_b32_f16 v0, v1, v0
	ds_write_b32 v53, v0 offset:3220
.LBB0_3:
	s_or_b64 exec, exec, s[14:15]
	s_waitcnt lgkmcnt(0)
	; wave barrier
	s_waitcnt lgkmcnt(0)
	ds_read2_b32 v[10:11], v53 offset1:75
	ds_read2_b32 v[12:13], v53 offset0:150 offset1:225
	ds_read2_b32 v[18:19], v2 offset0:44 offset1:119
	;; [unrolled: 1-line block ×4, first 2 shown]
	ds_read_b32 v45, v53 offset:3000
	s_load_dwordx2 s[4:5], s[4:5], 0x8
	v_mov_b32_e32 v0, 0
                                        ; implicit-def: $vgpr4
                                        ; implicit-def: $vgpr3
                                        ; implicit-def: $vgpr8
                                        ; implicit-def: $vgpr7
                                        ; implicit-def: $vgpr27
	s_and_saveexec_b64 s[0:1], vcc
	s_cbranch_execz .LBB0_5
; %bb.4:
	v_add_u32_e32 v2, 0x200, v53
	ds_read2_b32 v[6:7], v2 offset0:77 offset1:152
	v_add_u32_e32 v2, 0x400, v53
	v_add_u32_e32 v4, 0x600, v53
	;; [unrolled: 1-line block ×3, first 2 shown]
	ds_read2_b32 v[0:1], v53 offset0:55 offset1:130
	ds_read2_b32 v[2:3], v2 offset0:99 offset1:174
	;; [unrolled: 1-line block ×4, first 2 shown]
	ds_read_b32 v27, v53 offset:3220
.LBB0_5:
	s_or_b64 exec, exec, s[0:1]
	s_waitcnt lgkmcnt(0)
	v_pk_add_f16 v25, v1, v27 neg_lo:[0,1] neg_hi:[0,1]
	s_mov_b32 s19, 0xbb47
	v_pk_add_f16 v32, v27, v1
	s_movk_i32 s0, 0x36a6
	v_mul_f16_sdwa v29, v25, s19 dst_sel:DWORD dst_unused:UNUSED_PAD src0_sel:WORD_1 src1_sel:DWORD
	s_mov_b32 s18, 0xbbeb
	s_mov_b32 s16, 0xba0c
	v_pk_add_f16 v33, v6, v9 neg_lo:[0,1] neg_hi:[0,1]
	v_fma_f16 v23, v32, s0, v29
	s_mov_b32 s1, 0xb08e
	v_mul_f16_sdwa v31, v25, s18 dst_sel:DWORD dst_unused:UNUSED_PAD src0_sel:WORD_1 src1_sel:DWORD
	s_mov_b32 s12, 0xb93d
	v_pk_add_f16 v38, v9, v6
	v_mul_f16_sdwa v30, v33, s16 dst_sel:DWORD dst_unused:UNUSED_PAD src0_sel:WORD_1 src1_sel:DWORD
	s_movk_i32 s23, 0x3482
	v_pk_add_f16 v28, v7, v8 neg_lo:[0,1] neg_hi:[0,1]
	v_fma_f16 v24, v32, s1, v31
	s_mov_b32 s13, 0xbbad
	v_fma_f16 v41, v38, s12, v30
	v_mul_f16_sdwa v35, v33, s23 dst_sel:DWORD dst_unused:UNUSED_PAD src0_sel:WORD_1 src1_sel:DWORD
	s_movk_i32 s20, 0x3beb
	v_pk_add_f16 v39, v8, v7
	v_mul_f16_sdwa v34, v28, s23 dst_sel:DWORD dst_unused:UNUSED_PAD src0_sel:WORD_1 src1_sel:DWORD
	s_movk_i32 s15, 0x3b47
	v_pk_add_f16 v26, v2, v5 neg_lo:[0,1] neg_hi:[0,1]
	v_add_f16_e32 v23, v23, v0
	s_mov_b32 s17, 0xb853
	v_fma_f16 v42, v38, s13, v35
	v_fma_f16 v43, v39, s13, v34
	v_mul_f16_sdwa v37, v28, s15 dst_sel:DWORD dst_unused:UNUSED_PAD src0_sel:WORD_1 src1_sel:DWORD
	v_pk_add_f16 v40, v5, v2
	v_mul_f16_sdwa v36, v26, s20 dst_sel:DWORD dst_unused:UNUSED_PAD src0_sel:WORD_1 src1_sel:DWORD
	v_add_f16_e32 v23, v41, v23
	v_add_f16_e32 v24, v24, v0
	s_movk_i32 s14, 0x3abb
	v_fma_f16 v44, v39, s0, v37
	v_fma_f16 v46, v40, s1, v36
	v_add_f16_e32 v24, v42, v24
	v_mul_f16_sdwa v41, v26, s17 dst_sel:DWORD dst_unused:UNUSED_PAD src0_sel:WORD_1 src1_sel:DWORD
	v_add_f16_e32 v23, v43, v23
	s_movk_i32 s22, 0x3853
	v_fma_f16 v42, v40, s14, v41
	v_add_f16_e32 v24, v44, v24
	v_add_f16_e32 v23, v46, v23
	v_pk_add_f16 v46, v3, v4 neg_lo:[0,1] neg_hi:[0,1]
	v_pk_add_f16 v43, v4, v3
	v_add_f16_e32 v47, v42, v24
	v_mul_f16_sdwa v42, v46, s22 dst_sel:DWORD dst_unused:UNUSED_PAD src0_sel:WORD_1 src1_sel:DWORD
	v_fma_f16 v24, v43, s14, v42
	v_mul_f16_sdwa v44, v46, s16 dst_sel:DWORD dst_unused:UNUSED_PAD src0_sel:WORD_1 src1_sel:DWORD
	v_add_f16_e32 v24, v24, v23
	v_fma_f16 v23, v43, s12, v44
	v_add_f16_e32 v23, v23, v47
	v_pk_add_f16 v47, v10, v11
	v_pk_add_f16 v47, v47, v12
	;; [unrolled: 1-line block ×6, first 2 shown]
	v_pk_add_f16 v19, v19, v16 neg_lo:[0,1] neg_hi:[0,1]
	v_pk_add_f16 v16, v47, v16
	v_pk_add_f16 v16, v16, v17
	;; [unrolled: 1-line block ×3, first 2 shown]
	v_pk_add_f16 v13, v13, v14 neg_lo:[0,1] neg_hi:[0,1]
	v_pk_add_f16 v14, v16, v14
	v_pk_add_f16 v88, v15, v12
	v_pk_add_f16 v12, v12, v15 neg_lo:[0,1] neg_hi:[0,1]
	v_pk_add_f16 v14, v14, v15
	v_pk_add_f16 v15, v45, v11
	v_pk_add_f16 v11, v11, v45 neg_lo:[0,1] neg_hi:[0,1]
	v_mul_f16_sdwa v16, v11, s17 dst_sel:DWORD dst_unused:UNUSED_PAD src0_sel:WORD_1 src1_sel:DWORD
	v_pk_add_f16 v67, v17, v18
	v_pk_add_f16 v18, v18, v17 neg_lo:[0,1] neg_hi:[0,1]
	v_fma_f16 v17, v15, s14, -v16
	v_mul_f16_sdwa v90, v12, s19 dst_sel:DWORD dst_unused:UNUSED_PAD src0_sel:WORD_1 src1_sel:DWORD
	v_add_f16_e32 v17, v10, v17
	v_fma_f16 v47, v88, s0, -v90
	s_mov_b32 s24, 0x3abb36a6
	v_add_f16_e32 v17, v47, v17
	s_mov_b32 s25, 0xbb47b853
	v_pk_mul_f16 v47, v15, s24
	s_mov_b32 s24, 0x36a6b93d
	s_mov_b32 s21, 0xffff
	v_pk_fma_f16 v48, v11, s25, v47 op_sel:[0,0,1] op_sel_hi:[1,1,0] neg_lo:[1,0,0] neg_hi:[1,0,0]
	v_pk_fma_f16 v47, v11, s25, v47 op_sel:[0,0,1] op_sel_hi:[1,1,0]
	s_mov_b32 s25, 0xba0cbb47
	v_pk_mul_f16 v50, v88, s24
	v_bfi_b32 v49, s21, v47, v48
	v_pk_fma_f16 v91, v12, s25, v50 op_sel:[0,0,1] op_sel_hi:[1,1,0] neg_lo:[1,0,0] neg_hi:[1,0,0]
	v_pk_fma_f16 v50, v12, s25, v50 op_sel:[0,0,1] op_sel_hi:[1,1,0]
	v_pk_add_f16 v49, v10, v49 op_sel:[1,0] op_sel_hi:[0,1]
	v_bfi_b32 v51, s21, v50, v91
	v_pk_add_f16 v49, v51, v49
	v_lshrrev_b32_e32 v51, 16, v15
	v_mul_f16_e32 v52, 0xbb47, v11
	v_fma_f16 v66, v51, s0, v52
	v_lshrrev_b32_e32 v68, 16, v88
	v_mul_f16_e32 v69, 0xba0c, v12
	v_add_f16_sdwa v66, v10, v66 dst_sel:DWORD dst_unused:UNUSED_PAD src0_sel:WORD_1 src1_sel:DWORD
	v_fma_f16 v70, v68, s12, v69
	v_mul_f16_sdwa v92, v13, s18 dst_sel:DWORD dst_unused:UNUSED_PAD src0_sel:WORD_1 src1_sel:DWORD
	v_add_f16_e32 v66, v70, v66
	v_fma_f16 v70, v89, s1, -v92
	s_mov_b32 s24, 0xb08ebbad
	v_add_f16_e32 v17, v70, v17
	s_mov_b32 s25, 0x3482bbeb
	v_pk_mul_f16 v70, v89, s24
	v_pk_fma_f16 v93, v13, s25, v70 op_sel:[0,0,1] op_sel_hi:[1,1,0] neg_lo:[1,0,0] neg_hi:[1,0,0]
	v_pk_fma_f16 v70, v13, s25, v70 op_sel:[0,0,1] op_sel_hi:[1,1,0]
	v_bfi_b32 v71, s21, v70, v93
	v_pk_add_f16 v49, v71, v49
	v_lshrrev_b32_e32 v71, 16, v89
	v_mul_f16_e32 v72, 0x3482, v13
	v_fma_f16 v73, v71, s13, v72
	v_mul_f16_sdwa v94, v18, s16 dst_sel:DWORD dst_unused:UNUSED_PAD src0_sel:WORD_1 src1_sel:DWORD
	v_add_f16_e32 v66, v73, v66
	v_fma_f16 v73, v67, s12, -v94
	s_mov_b32 s24, 0xb93db08e
	v_add_f16_e32 v17, v73, v17
	s_mov_b32 s25, 0x3bebba0c
	v_pk_mul_f16 v73, v67, s24
	v_pk_fma_f16 v95, v18, s25, v73 op_sel:[0,0,1] op_sel_hi:[1,1,0] neg_lo:[1,0,0] neg_hi:[1,0,0]
	v_pk_fma_f16 v73, v18, s25, v73 op_sel:[0,0,1] op_sel_hi:[1,1,0]
	v_bfi_b32 v74, s21, v73, v95
	v_pk_add_f16 v49, v74, v49
	v_lshrrev_b32_e32 v74, 16, v67
	v_mul_f16_e32 v75, 0x3beb, v18
	s_mov_b32 s24, 0xb482
	v_fma_f16 v76, v74, s1, v75
	v_mul_f16_sdwa v96, v19, s24 dst_sel:DWORD dst_unused:UNUSED_PAD src0_sel:WORD_1 src1_sel:DWORD
	v_add_f16_e32 v66, v76, v66
	v_fma_f16 v76, v87, s13, -v96
	s_mov_b32 s26, 0xbbad3abb
	v_add_f16_e32 v17, v76, v17
	s_mov_b32 s25, 0x3853b482
	v_pk_mul_f16 v76, v87, s26
	v_pk_fma_f16 v97, v19, s25, v76 op_sel:[0,0,1] op_sel_hi:[1,1,0] neg_lo:[1,0,0] neg_hi:[1,0,0]
	v_pk_fma_f16 v77, v19, s25, v76 op_sel:[0,0,1] op_sel_hi:[1,1,0]
	v_bfi_b32 v77, s21, v77, v97
	v_pk_add_f16 v49, v77, v49
	v_lshrrev_b32_e32 v77, 16, v87
	v_mul_f16_e32 v78, 0x3853, v19
	v_fma_f16 v79, v77, s14, v78
	v_add_f16_e32 v66, v79, v66
	v_alignbit_b32 v79, v66, v49, 16
	v_pack_b32_f16 v17, v17, v49
	v_mul_lo_u16_e32 v49, 11, v64
	v_lshlrev_b32_e32 v66, 2, v49
	s_waitcnt lgkmcnt(0)
	; wave barrier
	ds_write2_b32 v66, v17, v79 offset0:1 offset1:2
	v_mul_f16_sdwa v17, v11, s18 dst_sel:DWORD dst_unused:UNUSED_PAD src0_sel:WORD_1 src1_sel:DWORD
	v_fma_f16 v49, v15, s1, -v17
	v_mul_f16_sdwa v79, v12, s23 dst_sel:DWORD dst_unused:UNUSED_PAD src0_sel:WORD_1 src1_sel:DWORD
	v_add_f16_e32 v49, v10, v49
	v_fma_f16 v80, v88, s13, -v79
	v_add_f16_e32 v49, v80, v49
	v_mul_f16_e32 v80, 0xbbeb, v11
	v_fma_f16 v81, v51, s1, v80
	v_mul_f16_e32 v82, 0x3482, v12
	v_add_f16_sdwa v81, v10, v81 dst_sel:DWORD dst_unused:UNUSED_PAD src0_sel:WORD_1 src1_sel:DWORD
	v_fma_f16 v83, v68, s13, v82
	v_add_f16_e32 v81, v83, v81
	v_mul_f16_sdwa v83, v11, s16 dst_sel:DWORD dst_unused:UNUSED_PAD src0_sel:WORD_1 src1_sel:DWORD
	v_fma_f16 v84, v15, s12, -v83
	v_mul_f16_sdwa v85, v12, s20 dst_sel:DWORD dst_unused:UNUSED_PAD src0_sel:WORD_1 src1_sel:DWORD
	v_add_f16_e32 v84, v10, v84
	v_fma_f16 v86, v88, s1, -v85
	v_add_f16_e32 v84, v86, v84
	v_mul_f16_e32 v86, 0xba0c, v11
	v_fma_f16 v98, v51, s12, v86
	v_mul_f16_e32 v99, 0x3beb, v12
	v_add_f16_sdwa v98, v10, v98 dst_sel:DWORD dst_unused:UNUSED_PAD src0_sel:WORD_1 src1_sel:DWORD
	v_fma_f16 v100, v68, s1, v99
	v_add_f16_e32 v98, v100, v98
	v_mul_f16_sdwa v100, v13, s15 dst_sel:DWORD dst_unused:UNUSED_PAD src0_sel:WORD_1 src1_sel:DWORD
	v_fma_f16 v101, v89, s0, -v100
	v_add_f16_e32 v49, v101, v49
	v_mul_f16_e32 v101, 0x3b47, v13
	v_fma_f16 v102, v71, s0, v101
	v_add_f16_e32 v81, v102, v81
	v_mul_f16_sdwa v102, v13, s17 dst_sel:DWORD dst_unused:UNUSED_PAD src0_sel:WORD_1 src1_sel:DWORD
	v_fma_f16 v103, v89, s14, -v102
	v_add_f16_e32 v84, v103, v84
	v_mul_f16_e32 v103, 0xb853, v13
	;; [unrolled: 6-line block ×6, first 2 shown]
	v_fma_f16 v112, v77, s0, v111
	v_add_f16_e32 v98, v112, v98
	v_pack_b32_f16 v84, v84, v98
	v_pack_b32_f16 v49, v49, v81
	ds_write2_b32 v66, v49, v84 offset0:3 offset1:4
	v_fma_f16 v49, v51, s0, -v52
	v_fma_f16 v52, v51, s1, -v80
	v_fma_f16 v16, v15, s14, v16
	v_fma_f16 v17, v15, s1, v17
	v_fma_f16 v80, v15, s12, v83
	v_pk_mul_f16 v15, v15, s13 op_sel_hi:[1,0]
	v_pk_fma_f16 v81, v11, s24, v15 op_sel:[0,0,1] op_sel_hi:[1,0,0] neg_lo:[1,0,0] neg_hi:[1,0,0]
	v_pk_fma_f16 v11, v11, s24, v15 op_sel:[0,0,1] op_sel_hi:[1,0,0]
	v_alignbit_b32 v15, s0, v47, 16
	v_add_f16_sdwa v47, v10, v52 dst_sel:DWORD dst_unused:UNUSED_PAD src0_sel:WORD_1 src1_sel:DWORD
	v_pk_mul_f16 v52, v88, s14 op_sel_hi:[1,0]
	v_add_f16_e32 v98, v10, v16
	v_add_f16_sdwa v16, v10, v49 dst_sel:DWORD dst_unused:UNUSED_PAD src0_sel:WORD_1 src1_sel:DWORD
	v_add_f16_e32 v49, v10, v80
	v_pk_add_f16 v11, v10, v11 op_sel:[1,0] op_sel_hi:[0,1]
	v_pk_fma_f16 v80, v12, s22, v52 op_sel:[0,0,1] op_sel_hi:[1,0,0] neg_lo:[1,0,0] neg_hi:[1,0,0]
	v_pk_fma_f16 v12, v12, s22, v52 op_sel:[0,0,1] op_sel_hi:[1,0,0]
	v_fma_f16 v51, v51, s12, -v86
	v_add_f16_sdwa v112, v10, v48 dst_sel:DWORD dst_unused:UNUSED_PAD src0_sel:WORD_1 src1_sel:DWORD
	v_alignbit_b32 v48, s0, v81, 16
	v_pk_add_f16 v11, v12, v11
	v_pk_mul_f16 v12, v89, s12 op_sel_hi:[1,0]
	v_pk_add_f16 v15, v10, v15
	v_add_f16_e32 v17, v10, v17
	v_add_f16_sdwa v51, v10, v51 dst_sel:DWORD dst_unused:UNUSED_PAD src0_sel:WORD_1 src1_sel:DWORD
	v_pk_add_f16 v48, v10, v48
	v_alignbit_b32 v10, s0, v10, 16
	v_pk_fma_f16 v52, v13, s16, v12 op_sel:[0,0,1] op_sel_hi:[1,0,0] neg_lo:[1,0,0] neg_hi:[1,0,0]
	v_pk_fma_f16 v12, v13, s16, v12 op_sel:[0,0,1] op_sel_hi:[1,0,0]
	v_pk_add_f16 v10, v10, v81
	v_pk_add_f16 v11, v12, v11
	v_pk_mul_f16 v12, v67, s0 op_sel_hi:[1,0]
	v_alignbit_b32 v81, s0, v80, 16
	v_pk_add_f16 v10, v80, v10
	v_pk_fma_f16 v13, v18, s15, v12 op_sel:[0,0,1] op_sel_hi:[1,0,0] neg_lo:[1,0,0] neg_hi:[1,0,0]
	v_pk_fma_f16 v12, v18, s15, v12 op_sel:[0,0,1] op_sel_hi:[1,0,0]
	v_pk_add_f16 v48, v81, v48
	v_alignbit_b32 v80, s0, v52, 16
	v_pk_add_f16 v10, v52, v10
	v_pk_add_f16 v11, v12, v11
	v_pk_mul_f16 v12, v87, s1 op_sel_hi:[1,0]
	v_pk_add_f16 v48, v80, v48
	v_alignbit_b32 v52, s0, v13, 16
	v_pk_add_f16 v10, v13, v10
	v_pk_fma_f16 v13, v19, s18, v12 op_sel:[0,0,1] op_sel_hi:[1,0,0] neg_lo:[1,0,0] neg_hi:[1,0,0]
	v_pk_add_f16 v48, v52, v48
	v_alignbit_b32 v18, s0, v13, 16
	v_pk_fma_f16 v12, v19, s18, v12 op_sel:[0,0,1] op_sel_hi:[1,0,0]
	v_pk_add_f16 v18, v18, v48
	v_pk_add_f16 v11, v12, v11
	;; [unrolled: 1-line block ×3, first 2 shown]
	v_alignbit_b32 v10, v10, v11, 16
	v_pack_b32_f16 v11, v18, v11
	ds_write2_b32 v66, v11, v10 offset0:5 offset1:6
	v_fma_f16 v11, v88, s1, v85
	v_add_f16_e32 v11, v11, v49
	v_fma_f16 v12, v68, s1, -v99
	v_fma_f16 v13, v89, s14, v102
	v_add_f16_e32 v12, v12, v51
	v_add_f16_e32 v11, v13, v11
	v_fma_f16 v13, v71, s14, -v103
	v_add_f16_e32 v12, v13, v12
	v_fma_f16 v13, v67, s13, v106
	v_add_f16_e32 v11, v13, v11
	v_fma_f16 v13, v74, s13, -v107
	v_add_f16_e32 v12, v13, v12
	v_fma_f16 v13, v87, s0, v110
	v_add_f16_e32 v11, v13, v11
	v_fma_f16 v13, v77, s0, -v111
	v_add_f16_e32 v12, v13, v12
	v_pk_add_f16 v10, v14, v45
	v_pack_b32_f16 v11, v11, v12
	ds_write2_b32 v66, v10, v11 offset1:7
	v_alignbit_b32 v10, s0, v50, 16
	v_pk_add_f16 v10, v10, v15
	v_fma_f16 v11, v68, s12, -v69
	v_alignbit_b32 v14, s0, v70, 16
	v_add_f16_e32 v11, v11, v16
	v_fma_f16 v12, v88, s13, v79
	v_pk_add_f16 v10, v14, v10
	v_fma_f16 v14, v71, s13, -v72
	v_add_f16_e32 v12, v12, v17
	v_fma_f16 v13, v68, s13, -v82
	v_add_f16_e32 v11, v14, v11
	v_fma_f16 v14, v89, s0, v100
	v_add_f16_e32 v13, v13, v47
	v_add_f16_e32 v12, v14, v12
	v_fma_f16 v14, v71, s0, -v101
	v_add_f16_e32 v13, v14, v13
	v_fma_f16 v14, v74, s1, -v75
	v_add_f16_e32 v11, v14, v11
	v_fma_f16 v14, v67, s14, v104
	v_fma_f16 v15, v77, s14, -v78
	v_add_f16_e32 v12, v14, v12
	v_add_f16_e32 v11, v15, v11
	v_fma_f16 v15, v87, s12, v108
	v_fma_f16 v14, v74, s14, -v105
	v_add_f16_e32 v12, v15, v12
	v_pk_mul_f16 v15, v19, s25
	v_pack_b32_f16 v14, v14, v76
	v_bfi_b32 v13, s21, v13, v15
	v_pk_add_f16 v13, v14, v13
	v_mul_f16_e32 v14, 0xba0c, v19
	v_lshlrev_b32_e32 v10, 16, v10
	v_pk_add_f16 v14, v109, v14 neg_lo:[0,1] neg_hi:[0,1]
	v_pk_add_f16 v10, v73, v10
	v_bfi_b32 v10, s21, v14, v10
	v_pk_add_f16 v10, v10, v13
	v_alignbit_b32 v11, v11, v10, 16
	v_pack_b32_f16 v10, v12, v10
	ds_write2_b32 v66, v10, v11 offset0:8 offset1:9
	v_mul_f16_sdwa v11, v25, s17 dst_sel:DWORD dst_unused:UNUSED_PAD src0_sel:WORD_1 src1_sel:DWORD
	v_fma_f16 v10, v32, s14, v11
	v_add_f16_e32 v12, v10, v0
	v_mul_f16_sdwa v10, v33, s19 dst_sel:DWORD dst_unused:UNUSED_PAD src0_sel:WORD_1 src1_sel:DWORD
	v_fma_f16 v13, v38, s0, v10
	v_add_f16_e32 v17, v13, v12
	v_lshrrev_b32_e32 v19, 16, v32
	v_mul_f16_e32 v12, 0xbb47, v25
	v_fma_f16 v13, v19, s0, -v12
	v_add_f16_sdwa v14, v13, v0 dst_sel:DWORD dst_unused:UNUSED_PAD src0_sel:DWORD src1_sel:WORD_1
	v_lshrrev_b32_e32 v18, 16, v38
	v_mul_f16_e32 v13, 0xba0c, v33
	v_fma_f16 v15, v18, s12, -v13
	v_add_f16_e32 v47, v15, v14
	v_mul_f16_e32 v15, 0xbbeb, v25
	v_fma_f16 v14, v19, s1, -v15
	v_mul_f16_e32 v16, 0x3482, v33
	v_add_f16_sdwa v14, v14, v0 dst_sel:DWORD dst_unused:UNUSED_PAD src0_sel:DWORD src1_sel:WORD_1
	v_fma_f16 v45, v18, s13, -v16
	v_add_f16_e32 v51, v45, v14
	v_mul_f16_sdwa v14, v25, s16 dst_sel:DWORD dst_unused:UNUSED_PAD src0_sel:WORD_1 src1_sel:DWORD
	v_fma_f16 v45, v32, s12, -v14
	v_mul_f16_sdwa v48, v33, s20 dst_sel:DWORD dst_unused:UNUSED_PAD src0_sel:WORD_1 src1_sel:DWORD
	v_add_f16_e32 v45, v45, v0
	v_fma_f16 v49, v38, s1, -v48
	v_fma_f16 v14, v32, s12, v14
	v_add_f16_e32 v68, v49, v45
	v_mul_f16_e32 v45, 0xba0c, v25
	v_fma_f16 v48, v38, s1, v48
	v_add_f16_e32 v14, v14, v0
	v_fma_f16 v49, v19, s12, v45
	v_mul_f16_e32 v50, 0x3beb, v33
	v_add_f16_e32 v70, v48, v14
	v_fma_f16 v14, v19, s12, -v45
	s_mov_b32 s20, 0xb482b853
	v_add_f16_sdwa v49, v49, v0 dst_sel:DWORD dst_unused:UNUSED_PAD src0_sel:DWORD src1_sel:WORD_1
	v_fma_f16 v52, v18, s1, v50
	v_fma_f16 v45, v18, s1, -v50
	v_add_f16_sdwa v14, v14, v0 dst_sel:DWORD dst_unused:UNUSED_PAD src0_sel:DWORD src1_sel:WORD_1
	s_mov_b32 s19, 0x3abbbbad
	v_pk_mul_f16 v48, v25, s20
	s_mov_b32 s22, 0x3853bb47
	v_add_f16_e32 v69, v52, v49
	v_add_f16_e32 v71, v45, v14
	v_pk_fma_f16 v14, v32, s19, v48 op_sel:[0,0,1] op_sel_hi:[1,1,0] neg_lo:[0,0,1] neg_hi:[0,0,1]
	s_mov_b32 s20, 0x36a63abb
	v_pk_mul_f16 v49, v33, s22
	v_pk_add_f16 v14, v14, v0
	v_pk_fma_f16 v45, v38, s20, v49 op_sel:[0,0,1] op_sel_hi:[1,1,0] neg_lo:[0,0,1] neg_hi:[0,0,1]
	v_mul_f16_e32 v25, 0xb482, v25
	v_pk_add_f16 v72, v45, v14
	v_mul_f16_e32 v33, 0x3853, v33
	v_fma_f16 v14, v19, s13, -v25
	v_add_f16_sdwa v14, v14, v0 dst_sel:DWORD dst_unused:UNUSED_PAD src0_sel:DWORD src1_sel:WORD_1
	v_fma_f16 v45, v18, s14, -v33
	v_add_f16_e32 v73, v45, v14
	v_mul_f16_sdwa v14, v28, s18 dst_sel:DWORD dst_unused:UNUSED_PAD src0_sel:WORD_1 src1_sel:DWORD
	v_fma_f16 v45, v39, s1, v14
	v_add_f16_e32 v74, v45, v17
	v_lshrrev_b32_e32 v52, 16, v39
	v_mul_f16_e32 v45, 0x3482, v28
	v_fma_f16 v17, v52, s13, -v45
	v_mul_f16_e32 v50, 0x3b47, v28
	v_add_f16_e32 v47, v17, v47
	v_fma_f16 v17, v52, s0, -v50
	v_add_f16_e32 v77, v17, v51
	v_mul_f16_sdwa v17, v28, s17 dst_sel:DWORD dst_unused:UNUSED_PAD src0_sel:WORD_1 src1_sel:DWORD
	v_fma_f16 v51, v39, s14, -v17
	v_add_f16_e32 v68, v51, v68
	v_mul_f16_e32 v51, 0xb853, v28
	v_fma_f16 v75, v52, s14, v51
	v_fma_f16 v17, v39, s14, v17
	s_mov_b32 s18, 0xba0cbbeb
	v_add_f16_e32 v69, v75, v69
	v_add_f16_e32 v70, v17, v70
	v_fma_f16 v17, v52, s14, -v51
	s_mov_b32 s17, 0xb08eb93d
	v_pk_mul_f16 v75, v28, s18
	v_add_f16_e32 v71, v17, v71
	v_pk_fma_f16 v17, v39, s17, v75 op_sel:[0,0,1] op_sel_hi:[1,1,0] neg_lo:[0,0,1] neg_hi:[0,0,1]
	v_mul_f16_e32 v28, 0xba0c, v28
	v_pk_add_f16 v72, v17, v72
	v_fma_f16 v17, v52, s12, -v28
	v_add_f16_e32 v73, v17, v73
	v_mul_f16_sdwa v17, v26, s16 dst_sel:DWORD dst_unused:UNUSED_PAD src0_sel:WORD_1 src1_sel:DWORD
	v_fma_f16 v51, v40, s12, v17
	v_add_f16_e32 v74, v51, v74
	v_lshrrev_b32_e32 v82, 16, v40
	v_mul_f16_e32 v51, 0x3beb, v26
	v_fma_f16 v76, v82, s1, -v51
	v_add_f16_e32 v79, v76, v47
	v_mul_f16_e32 v76, 0xb853, v26
	v_fma_f16 v47, v82, s14, -v76
	v_add_f16_e32 v77, v47, v77
	v_mul_f16_sdwa v47, v26, s24 dst_sel:DWORD dst_unused:UNUSED_PAD src0_sel:WORD_1 src1_sel:DWORD
	v_fma_f16 v78, v40, s13, -v47
	v_add_f16_e32 v99, v78, v68
	v_mul_f16_e32 v68, 0xb482, v26
	v_fma_f16 v47, v40, s13, v47
	s_mov_b32 s18, 0x3b47ba0c
	v_add_f16_e32 v100, v47, v70
	v_fma_f16 v47, v82, s13, -v68
	s_mov_b32 s16, 0xb93d36a6
	v_pk_mul_f16 v83, v26, s18
	v_add_f16_e32 v81, v47, v71
	v_pk_fma_f16 v47, v40, s16, v83 op_sel:[0,0,1] op_sel_hi:[1,1,0] neg_lo:[0,0,1] neg_hi:[0,0,1]
	v_mul_f16_e32 v102, 0x3b47, v26
	v_fma_f16 v78, v82, s13, v68
	v_pk_add_f16 v101, v47, v72
	v_fma_f16 v26, v82, s0, -v102
	v_mul_f16_sdwa v47, v46, s24 dst_sel:DWORD dst_unused:UNUSED_PAD src0_sel:WORD_1 src1_sel:DWORD
	v_add_f16_e32 v80, v78, v69
	v_add_f16_e32 v103, v26, v73
	v_fma_f16 v26, v43, s13, v47
	v_lshrrev_b32_e32 v85, 16, v43
	v_mul_f16_e32 v78, 0x3853, v46
	v_add_f16_e32 v70, v26, v74
	v_fma_f16 v26, v85, s14, -v78
	s_mov_b32 s14, 0xbbebb482
	v_pk_fma_f16 v73, v32, s19, v48 op_sel:[0,0,1] op_sel_hi:[1,1,0]
	v_mul_f16_e32 v84, 0xba0c, v46
	v_pk_mul_f16 v86, v46, s14
	v_pack_b32_f16 v33, v33, v73
	s_mov_b32 s14, 0x5040100
	v_mul_f16_e32 v73, 0x3abb, v18
	v_add_f16_e32 v69, v26, v79
	v_fma_f16 v26, v85, s12, -v84
	v_perm_b32 v73, v0, v73, s14
	v_fma_f16 v25, v19, s13, v25
	v_pk_mul_f16 v79, v38, s20
	s_mov_b32 s20, 0x7060302
	v_add_f16_e32 v71, v26, v77
	v_mul_f16_e32 v26, 0x3b47, v46
	v_pk_add_f16 v33, v33, v73
	v_pack_b32_f16 v25, v25, v79
	v_perm_b32 v73, v49, v0, s20
	v_fma_f16 v68, v85, s0, v26
	v_pk_add_f16 v25, v25, v73
	v_add_f16_e32 v68, v68, v80
	v_pk_add_f16 v25, v25, v33
	v_pk_mul_f16 v80, v39, s17
	v_mul_f16_e32 v33, 0xb93d, v52
	v_fma_f16 v26, v85, s0, -v26
	v_pack_b32_f16 v28, v28, v80
	v_bfi_b32 v33, s21, v33, v75
	v_add_f16_e32 v72, v26, v81
	v_pk_add_f16 v28, v28, v33
	v_pk_mul_f16 v81, v40, s16
	v_mul_f16_e32 v33, 0x36a6, v82
	v_pk_add_f16 v25, v28, v25
	v_pack_b32_f16 v28, v102, v81
	v_bfi_b32 v33, s21, v33, v83
	s_mov_b32 s18, 0xbbadb08e
	v_pk_add_f16 v28, v28, v33
	v_pk_add_f16 v25, v28, v25
	v_mul_f16_e32 v28, 0xb08e, v85
	v_pk_mul_f16 v77, v43, s18
	v_mul_f16_e32 v33, 0xbbeb, v46
	v_bfi_b32 v28, s21, v28, v86
	v_pack_b32_f16 v73, v33, v77
	v_pk_add_f16 v28, v73, v28
	v_pk_add_f16 v73, v28, v25
	v_fma_f16 v25, v85, s1, -v33
	v_add_f16_e32 v74, v25, v103
	v_fma_f16 v25, v88, s0, v90
	v_add_f16_e32 v25, v25, v98
	v_fma_f16 v28, v89, s1, v92
	;; [unrolled: 2-line block ×4, first 2 shown]
	v_add_f16_e32 v25, v28, v25
	v_add_f16_e32 v28, v91, v112
	;; [unrolled: 1-line block ×5, first 2 shown]
	v_pack_b32_f16 v25, v25, v28
	ds_write_b32 v66, v25 offset:40
	v_mul_f16_sdwa v25, v46, s15 dst_sel:DWORD dst_unused:UNUSED_PAD src0_sel:WORD_1 src1_sel:DWORD
	v_fma_f16 v28, v43, s0, -v25
	v_fma_f16 v33, v43, s0, v25
	v_pk_fma_f16 v26, v43, s18, v86 op_sel:[0,0,1] op_sel_hi:[1,1,0] neg_lo:[0,0,1] neg_hi:[0,0,1]
	v_add_f16_e32 v25, v28, v99
	v_add_f16_e32 v28, v33, v100
	v_add_co_u32_e64 v33, s[0:1], 55, v64
	v_pk_add_f16 v26, v26, v101
	v_mul_u32_u24_e32 v67, 11, v33
	s_and_saveexec_b64 s[0:1], vcc
	s_cbranch_execz .LBB0_7
; %bb.6:
	v_mul_f16_e32 v88, 0x36a6, v19
	v_mul_f16_e32 v19, 0xb08e, v19
	;; [unrolled: 1-line block ×4, first 2 shown]
	v_add_f16_e32 v15, v15, v19
	v_mul_f16_e32 v95, 0xbbad, v52
	v_mul_f16_e32 v52, 0x36a6, v52
	v_add_f16_sdwa v15, v15, v0 dst_sel:DWORD dst_unused:UNUSED_PAD src0_sel:DWORD src1_sel:WORD_1
	v_add_f16_e32 v16, v16, v18
	v_mul_f16_e32 v98, 0xb08e, v82
	v_mul_f16_e32 v82, 0x3abb, v82
	v_add_f16_e32 v15, v16, v15
	v_add_f16_e32 v16, v50, v52
	v_mul_f16_e32 v101, 0x3abb, v85
	v_mul_f16_e32 v85, 0xb93d, v85
	v_add_f16_e32 v15, v16, v15
	v_add_f16_e32 v16, v76, v82
	v_mul_f16_e32 v89, 0xb08e, v32
	v_add_f16_e32 v15, v16, v15
	v_add_f16_e32 v16, v84, v85
	;; [unrolled: 1-line block ×3, first 2 shown]
	v_mul_f16_e32 v90, 0x36a6, v38
	v_mul_f16_e32 v91, 0xb93d, v38
	;; [unrolled: 1-line block ×3, first 2 shown]
	v_add_f16_e32 v15, v16, v15
	v_sub_f16_e32 v16, v89, v31
	v_add_f16_sdwa v12, v12, v0 dst_sel:DWORD dst_unused:UNUSED_PAD src0_sel:DWORD src1_sel:WORD_1
	v_add_f16_e32 v13, v13, v92
	v_mul_f16_e32 v93, 0xb08e, v39
	v_mul_f16_e32 v94, 0xbbad, v39
	;; [unrolled: 1-line block ×3, first 2 shown]
	v_add_f16_e32 v16, v16, v0
	v_sub_f16_e32 v18, v38, v35
	v_add_f16_e32 v12, v13, v12
	v_add_f16_e32 v13, v45, v95
	v_mul_f16_e32 v96, 0xb93d, v40
	v_mul_f16_e32 v97, 0xb08e, v40
	;; [unrolled: 1-line block ×3, first 2 shown]
	v_add_f16_e32 v16, v18, v16
	v_sub_f16_e32 v18, v39, v37
	v_add_f16_e32 v12, v13, v12
	v_add_f16_e32 v13, v51, v98
	v_mul_f16_e32 v87, 0x36a6, v32
	v_mul_f16_e32 v99, 0xbbad, v43
	;; [unrolled: 1-line block ×4, first 2 shown]
	v_add_f16_e32 v16, v18, v16
	v_sub_f16_e32 v18, v40, v41
	v_add_f16_e32 v12, v13, v12
	v_add_f16_e32 v13, v78, v101
	;; [unrolled: 1-line block ×3, first 2 shown]
	v_sub_f16_e32 v18, v43, v44
	v_add_f16_e32 v12, v13, v12
	v_sub_f16_e32 v13, v87, v29
	v_add_f16_e32 v16, v18, v16
	v_add_f16_e32 v13, v13, v0
	v_sub_f16_e32 v18, v91, v30
	v_add_f16_e32 v13, v18, v13
	v_sub_f16_e32 v18, v94, v34
	v_pk_add_f16 v1, v1, v0
	v_mul_f16_e32 v46, 0x3abb, v32
	v_pk_mul_f16 v32, v32, s19
	v_add_f16_e32 v13, v18, v13
	v_sub_f16_e32 v18, v97, v36
	v_pk_add_f16 v1, v6, v1
	v_alignbit_b32 v48, v48, v48, 16
	v_add_f16_e32 v13, v18, v13
	v_sub_f16_e32 v18, v100, v42
	v_bfi_b32 v11, s21, v11, v32
	v_pk_add_f16 v1, v7, v1
	v_alignbit_b32 v49, v49, v49, 16
	v_add_f16_e32 v13, v18, v13
	v_pk_add_f16 v11, v46, v11 neg_lo:[0,1] neg_hi:[0,1]
	v_pk_add_f16 v18, v48, v32
	v_bfi_b32 v10, s21, v10, v79
	v_pk_add_f16 v1, v2, v1
	v_alignbit_b32 v75, v75, v75, 16
	v_bfi_b32 v11, s21, v11, v18
	v_pk_add_f16 v10, v90, v10 neg_lo:[0,1] neg_hi:[0,1]
	v_pk_add_f16 v18, v49, v79
	v_bfi_b32 v14, s21, v14, v80
	v_pk_add_f16 v1, v3, v1
	v_alignbit_b32 v83, v83, v83, 16
	v_bfi_b32 v10, s21, v10, v18
	v_pk_add_f16 v14, v93, v14 neg_lo:[0,1] neg_hi:[0,1]
	v_pk_add_f16 v18, v75, v80
	v_bfi_b32 v17, s21, v17, v81
	v_pk_add_f16 v1, v4, v1
	v_pk_add_f16 v0, v11, v0
	v_alignbit_b32 v86, v86, v86, 16
	v_bfi_b32 v14, s21, v14, v18
	v_pk_add_f16 v17, v96, v17 neg_lo:[0,1] neg_hi:[0,1]
	v_pk_add_f16 v18, v83, v81
	v_pk_add_f16 v1, v5, v1
	;; [unrolled: 1-line block ×3, first 2 shown]
	v_bfi_b32 v2, s21, v47, v77
	v_bfi_b32 v17, s21, v17, v18
	v_pk_add_f16 v1, v8, v1
	v_pk_add_f16 v0, v14, v0
	v_pk_add_f16 v2, v99, v2 neg_lo:[0,1] neg_hi:[0,1]
	v_pk_add_f16 v3, v86, v77
	v_pk_add_f16 v1, v9, v1
	;; [unrolled: 1-line block ×3, first 2 shown]
	v_bfi_b32 v2, s21, v2, v3
	v_lshlrev_b32_e32 v18, 2, v67
	v_pk_add_f16 v1, v27, v1
	v_pk_add_f16 v0, v2, v0
	ds_write2_b32 v18, v1, v0 offset1:1
	v_pack_b32_f16 v0, v16, v15
	v_pack_b32_f16 v1, v13, v12
	ds_write2_b32 v18, v1, v0 offset0:2 offset1:3
	v_perm_b32 v0, v68, v25, s14
	ds_write_b32 v18, v0 offset:16
	v_perm_b32 v0, v73, v26, s14
	v_alignbit_b32 v1, v74, v73, 16
	ds_write2_b32 v18, v0, v1 offset0:5 offset1:6
	v_perm_b32 v0, v71, v23, s14
	v_perm_b32 v1, v72, v28, s14
	ds_write2_b32 v18, v1, v0 offset0:7 offset1:8
	v_bfi_b32 v0, s21, v70, v26
	v_perm_b32 v1, v69, v24, s14
	ds_write2_b32 v18, v1, v0 offset0:9 offset1:10
.LBB0_7:
	s_or_b64 exec, exec, s[0:1]
	s_movk_i32 s0, 0x6e
	s_movk_i32 s12, 0x75
	v_add_co_u32_e64 v34, s[0:1], s0, v64
	v_mul_lo_u16_sdwa v0, v64, s12 dst_sel:DWORD dst_unused:UNUSED_PAD src0_sel:BYTE_0 src1_sel:DWORD
	v_mul_lo_u16_sdwa v8, v34, s12 dst_sel:DWORD dst_unused:UNUSED_PAD src0_sel:BYTE_0 src1_sel:DWORD
	v_sub_u16_sdwa v1, v64, v0 dst_sel:DWORD dst_unused:UNUSED_PAD src0_sel:DWORD src1_sel:BYTE_1
	v_sub_u16_sdwa v9, v34, v8 dst_sel:DWORD dst_unused:UNUSED_PAD src0_sel:DWORD src1_sel:BYTE_1
	v_lshrrev_b16_e32 v1, 1, v1
	v_lshrrev_b16_e32 v9, 1, v9
	v_and_b32_e32 v1, 0x7f, v1
	v_and_b32_e32 v9, 0x7f, v9
	v_add_u16_sdwa v0, v1, v0 dst_sel:DWORD dst_unused:UNUSED_PAD src0_sel:DWORD src1_sel:BYTE_1
	v_add_u16_sdwa v8, v9, v8 dst_sel:DWORD dst_unused:UNUSED_PAD src0_sel:DWORD src1_sel:BYTE_1
	v_lshrrev_b16_e32 v37, 3, v0
	v_lshrrev_b16_e32 v41, 3, v8
	v_mul_lo_u16_e32 v0, 11, v37
	v_mul_lo_u16_e32 v8, 11, v41
	v_sub_u16_e32 v0, v64, v0
	v_mul_lo_u16_sdwa v1, v33, s12 dst_sel:DWORD dst_unused:UNUSED_PAD src0_sel:BYTE_0 src1_sel:DWORD
	v_sub_u16_e32 v8, v34, v8
	v_and_b32_e32 v38, 0xff, v0
	v_sub_u16_sdwa v2, v33, v1 dst_sel:DWORD dst_unused:UNUSED_PAD src0_sel:DWORD src1_sel:BYTE_1
	v_and_b32_e32 v42, 0xff, v8
	v_lshlrev_b32_e32 v0, 4, v38
	v_lshrrev_b16_e32 v2, 1, v2
	v_lshlrev_b32_e32 v8, 4, v42
	s_waitcnt lgkmcnt(0)
	; wave barrier
	s_waitcnt lgkmcnt(0)
	global_load_dwordx4 v[4:7], v0, s[4:5]
	v_add_u32_e32 v45, 0x400, v53
	global_load_dwordx4 v[8:11], v8, s[4:5]
	v_and_b32_e32 v0, 0x7f, v2
	v_add_u16_sdwa v0, v0, v1 dst_sel:DWORD dst_unused:UNUSED_PAD src0_sel:DWORD src1_sel:BYTE_1
	v_lshrrev_b16_e32 v39, 3, v0
	v_mul_lo_u16_e32 v0, 11, v39
	v_sub_u16_e32 v0, v33, v0
	v_and_b32_e32 v40, 0xff, v0
	v_lshlrev_b32_e32 v0, 4, v40
	global_load_dwordx4 v[0:3], v0, s[4:5]
	ds_read2_b32 v[12:13], v53 offset1:55
	ds_read2_b32 v[14:15], v53 offset0:110 offset1:165
	v_add_u32_e32 v27, 0x800, v53
	v_add_u32_e32 v43, 0x200, v53
	ds_read_b32 v44, v53 offset:3080
	ds_read2_b32 v[16:17], v45 offset0:74 offset1:129
	ds_read2_b32 v[18:19], v45 offset0:184 offset1:239
	;; [unrolled: 1-line block ×5, first 2 shown]
	s_waitcnt lgkmcnt(4)
	v_lshrrev_b32_e32 v51, 16, v16
	v_lshrrev_b32_e32 v47, 16, v15
	s_waitcnt lgkmcnt(2)
	v_lshrrev_b32_e32 v79, 16, v30
	s_waitcnt lgkmcnt(1)
	v_lshrrev_b32_e32 v80, 16, v32
	v_lshrrev_b32_e32 v52, 16, v19
	;; [unrolled: 1-line block ×4, first 2 shown]
	s_waitcnt lgkmcnt(0)
	v_lshrrev_b32_e32 v82, 16, v36
	s_movk_i32 s13, 0x3b9c
	s_mov_b32 s15, 0xbb9c
	v_lshrrev_b32_e32 v50, 16, v44
	s_movk_i32 s12, 0x38b4
	s_mov_b32 s16, 0xb8b4
	s_movk_i32 s14, 0x34f2
	v_lshrrev_b32_e32 v46, 16, v12
	v_lshrrev_b32_e32 v77, 16, v17
	;; [unrolled: 1-line block ×6, first 2 shown]
	s_waitcnt lgkmcnt(0)
	; wave barrier
	s_movk_i32 s0, 0x95
	s_waitcnt vmcnt(2)
	v_mul_f16_sdwa v83, v47, v4 dst_sel:DWORD dst_unused:UNUSED_PAD src0_sel:DWORD src1_sel:WORD_1
	v_mul_f16_sdwa v84, v15, v4 dst_sel:DWORD dst_unused:UNUSED_PAD src0_sel:DWORD src1_sel:WORD_1
	v_fma_f16 v15, v15, v4, -v83
	v_mul_f16_sdwa v85, v51, v5 dst_sel:DWORD dst_unused:UNUSED_PAD src0_sel:DWORD src1_sel:WORD_1
	v_mul_f16_sdwa v87, v52, v6 dst_sel:DWORD dst_unused:UNUSED_PAD src0_sel:DWORD src1_sel:WORD_1
	;; [unrolled: 1-line block ×5, first 2 shown]
	v_fma_f16 v16, v16, v5, -v85
	v_fma_f16 v19, v19, v6, -v87
	s_waitcnt vmcnt(0)
	v_mul_f16_sdwa v83, v79, v3 dst_sel:DWORD dst_unused:UNUSED_PAD src0_sel:DWORD src1_sel:WORD_1
	v_fma_f16 v83, v30, v3, -v83
	v_mul_f16_sdwa v30, v30, v3 dst_sel:DWORD dst_unused:UNUSED_PAD src0_sel:DWORD src1_sel:WORD_1
	v_fma_f16 v30, v79, v3, v30
	v_mul_f16_sdwa v79, v80, v8 dst_sel:DWORD dst_unused:UNUSED_PAD src0_sel:DWORD src1_sel:WORD_1
	v_fma_f16 v79, v32, v8, -v79
	v_mul_f16_sdwa v32, v32, v8 dst_sel:DWORD dst_unused:UNUSED_PAD src0_sel:DWORD src1_sel:WORD_1
	v_fma_f16 v32, v80, v8, v32
	v_mul_f16_sdwa v80, v81, v9 dst_sel:DWORD dst_unused:UNUSED_PAD src0_sel:DWORD src1_sel:WORD_1
	v_mul_f16_sdwa v89, v75, v7 dst_sel:DWORD dst_unused:UNUSED_PAD src0_sel:DWORD src1_sel:WORD_1
	v_fma_f16 v47, v47, v4, v84
	v_fma_f16 v75, v75, v7, v90
	v_fma_f16 v80, v18, v9, -v80
	v_mul_f16_sdwa v18, v18, v9 dst_sel:DWORD dst_unused:UNUSED_PAD src0_sel:DWORD src1_sel:WORD_1
	v_add_f16_e32 v84, v16, v19
	v_fma_f16 v51, v51, v5, v86
	v_fma_f16 v52, v52, v6, v88
	v_fma_f16 v29, v29, v7, -v89
	v_fma_f16 v18, v81, v9, v18
	v_mul_f16_sdwa v81, v82, v10 dst_sel:DWORD dst_unused:UNUSED_PAD src0_sel:DWORD src1_sel:WORD_1
	v_fma_f16 v84, v84, -0.5, v12
	v_sub_f16_e32 v85, v47, v75
	v_fma_f16 v81, v36, v10, -v81
	v_mul_f16_sdwa v36, v36, v10 dst_sel:DWORD dst_unused:UNUSED_PAD src0_sel:DWORD src1_sel:WORD_1
	v_fma_f16 v86, v85, s13, v84
	v_sub_f16_e32 v87, v51, v52
	v_sub_f16_e32 v88, v15, v16
	;; [unrolled: 1-line block ×3, first 2 shown]
	v_fma_f16 v84, v85, s15, v84
	v_fma_f16 v36, v82, v10, v36
	v_mul_f16_sdwa v82, v50, v11 dst_sel:DWORD dst_unused:UNUSED_PAD src0_sel:DWORD src1_sel:WORD_1
	v_fma_f16 v86, v87, s12, v86
	v_add_f16_e32 v88, v88, v89
	v_fma_f16 v84, v87, s16, v84
	v_fma_f16 v82, v44, v11, -v82
	v_mul_f16_sdwa v44, v44, v11 dst_sel:DWORD dst_unused:UNUSED_PAD src0_sel:DWORD src1_sel:WORD_1
	v_fma_f16 v86, v88, s14, v86
	v_fma_f16 v84, v88, s14, v84
	v_add_f16_e32 v88, v15, v29
	v_fma_f16 v44, v50, v11, v44
	v_add_f16_e32 v50, v12, v15
	v_fma_f16 v12, v88, -0.5, v12
	v_add_f16_e32 v50, v50, v16
	v_fma_f16 v88, v87, s15, v12
	v_fma_f16 v12, v87, s13, v12
	v_add_f16_e32 v87, v51, v52
	v_add_f16_e32 v50, v50, v19
	v_sub_f16_e32 v89, v16, v15
	v_sub_f16_e32 v90, v19, v29
	v_fma_f16 v87, v87, -0.5, v46
	v_sub_f16_e32 v15, v15, v29
	v_add_f16_e32 v50, v50, v29
	v_fma_f16 v88, v85, s12, v88
	v_add_f16_e32 v89, v89, v90
	v_fma_f16 v12, v85, s16, v12
	v_fma_f16 v29, v15, s15, v87
	v_sub_f16_e32 v16, v16, v19
	v_fma_f16 v88, v89, s14, v88
	v_fma_f16 v12, v89, s14, v12
	;; [unrolled: 1-line block ×3, first 2 shown]
	v_sub_f16_e32 v29, v47, v51
	v_sub_f16_e32 v89, v75, v52
	v_fma_f16 v87, v15, s13, v87
	v_add_f16_e32 v29, v29, v89
	v_fma_f16 v87, v16, s12, v87
	v_fma_f16 v19, v29, s14, v19
	;; [unrolled: 1-line block ×3, first 2 shown]
	v_add_f16_e32 v87, v47, v75
	v_mul_f16_sdwa v93, v77, v1 dst_sel:DWORD dst_unused:UNUSED_PAD src0_sel:DWORD src1_sel:WORD_1
	v_mul_f16_sdwa v95, v78, v2 dst_sel:DWORD dst_unused:UNUSED_PAD src0_sel:DWORD src1_sel:WORD_1
	v_add_f16_e32 v85, v46, v47
	v_fma_f16 v46, v87, -0.5, v46
	v_mul_f16_sdwa v92, v31, v0 dst_sel:DWORD dst_unused:UNUSED_PAD src0_sel:DWORD src1_sel:WORD_1
	v_mul_f16_sdwa v94, v17, v1 dst_sel:DWORD dst_unused:UNUSED_PAD src0_sel:DWORD src1_sel:WORD_1
	;; [unrolled: 1-line block ×3, first 2 shown]
	v_fma_f16 v17, v17, v1, -v93
	v_fma_f16 v35, v35, v2, -v95
	v_add_f16_e32 v85, v85, v51
	v_fma_f16 v87, v16, s13, v46
	v_sub_f16_e32 v47, v51, v47
	v_sub_f16_e32 v51, v52, v75
	v_fma_f16 v16, v16, s15, v46
	v_mul_f16_sdwa v91, v76, v0 dst_sel:DWORD dst_unused:UNUSED_PAD src0_sel:DWORD src1_sel:WORD_1
	v_fma_f16 v76, v76, v0, v92
	v_fma_f16 v87, v15, s16, v87
	v_add_f16_e32 v47, v47, v51
	v_fma_f16 v15, v15, s12, v16
	v_add_f16_e32 v46, v17, v35
	v_fma_f16 v31, v31, v0, -v91
	v_fma_f16 v77, v77, v1, v94
	v_fma_f16 v78, v78, v2, v96
	v_add_f16_e32 v85, v85, v52
	v_fma_f16 v51, v47, s14, v87
	v_fma_f16 v15, v47, s14, v15
	v_fma_f16 v46, v46, -0.5, v13
	v_sub_f16_e32 v47, v76, v30
	v_add_f16_e32 v85, v85, v75
	v_fma_f16 v52, v47, s13, v46
	v_sub_f16_e32 v75, v77, v78
	v_sub_f16_e32 v87, v31, v17
	;; [unrolled: 1-line block ×3, first 2 shown]
	v_fma_f16 v46, v47, s15, v46
	v_fma_f16 v52, v75, s12, v52
	v_add_f16_e32 v87, v87, v89
	v_fma_f16 v46, v75, s16, v46
	v_fma_f16 v52, v87, s14, v52
	;; [unrolled: 1-line block ×3, first 2 shown]
	v_add_f16_e32 v87, v31, v83
	v_add_f16_e32 v16, v13, v31
	v_fma_f16 v13, v87, -0.5, v13
	v_add_f16_e32 v16, v16, v17
	v_fma_f16 v87, v75, s15, v13
	v_fma_f16 v13, v75, s13, v13
	v_add_f16_e32 v75, v77, v78
	v_add_f16_e32 v16, v16, v35
	v_sub_f16_e32 v89, v17, v31
	v_sub_f16_e32 v90, v35, v83
	v_fma_f16 v75, v75, -0.5, v48
	v_sub_f16_e32 v31, v31, v83
	v_add_f16_e32 v16, v16, v83
	v_fma_f16 v87, v47, s12, v87
	v_add_f16_e32 v89, v89, v90
	v_fma_f16 v13, v47, s16, v13
	v_fma_f16 v83, v31, s15, v75
	v_sub_f16_e32 v17, v17, v35
	v_fma_f16 v87, v89, s14, v87
	v_fma_f16 v13, v89, s14, v13
	;; [unrolled: 1-line block ×3, first 2 shown]
	v_sub_f16_e32 v83, v76, v77
	v_sub_f16_e32 v89, v30, v78
	v_fma_f16 v75, v31, s13, v75
	v_add_f16_e32 v83, v83, v89
	v_fma_f16 v75, v17, s12, v75
	v_add_f16_e32 v47, v48, v76
	v_fma_f16 v35, v83, s14, v35
	v_fma_f16 v83, v83, s14, v75
	v_add_f16_e32 v75, v76, v30
	v_add_f16_e32 v47, v47, v77
	v_fma_f16 v48, v75, -0.5, v48
	v_add_f16_e32 v47, v47, v78
	v_fma_f16 v75, v17, s13, v48
	v_fma_f16 v17, v17, s15, v48
	v_add_f16_e32 v47, v47, v30
	v_fma_f16 v75, v31, s16, v75
	v_sub_f16_e32 v76, v77, v76
	v_sub_f16_e32 v30, v78, v30
	v_fma_f16 v17, v31, s12, v17
	v_add_f16_e32 v31, v80, v81
	v_add_f16_e32 v30, v76, v30
	v_fma_f16 v31, v31, -0.5, v14
	v_sub_f16_e32 v48, v32, v44
	v_fma_f16 v77, v30, s14, v75
	v_fma_f16 v75, v48, s13, v31
	v_sub_f16_e32 v76, v18, v36
	v_sub_f16_e32 v78, v79, v80
	;; [unrolled: 1-line block ×3, first 2 shown]
	v_fma_f16 v75, v76, s12, v75
	v_add_f16_e32 v78, v78, v89
	v_fma_f16 v89, v78, s14, v75
	v_fma_f16 v31, v48, s15, v31
	v_add_f16_e32 v75, v79, v82
	v_fma_f16 v17, v30, s14, v17
	v_add_f16_e32 v30, v14, v79
	v_fma_f16 v31, v76, s16, v31
	v_fma_f16 v14, v75, -0.5, v14
	v_fma_f16 v31, v78, s14, v31
	v_fma_f16 v75, v76, s15, v14
	v_sub_f16_e32 v78, v80, v79
	v_sub_f16_e32 v90, v81, v82
	v_fma_f16 v75, v48, s12, v75
	v_add_f16_e32 v78, v78, v90
	v_fma_f16 v90, v78, s14, v75
	v_fma_f16 v14, v76, s13, v14
	v_add_f16_e32 v75, v18, v36
	v_add_f16_e32 v30, v30, v80
	v_fma_f16 v14, v48, s16, v14
	v_fma_f16 v75, v75, -0.5, v49
	v_sub_f16_e32 v76, v79, v82
	v_add_f16_e32 v30, v30, v81
	v_fma_f16 v14, v78, s14, v14
	v_fma_f16 v78, v76, s15, v75
	v_sub_f16_e32 v79, v80, v81
	v_sub_f16_e32 v80, v32, v18
	;; [unrolled: 1-line block ×3, first 2 shown]
	v_fma_f16 v75, v76, s13, v75
	v_fma_f16 v78, v79, s16, v78
	v_add_f16_e32 v80, v80, v81
	v_fma_f16 v75, v79, s12, v75
	v_add_f16_e32 v48, v49, v32
	v_fma_f16 v78, v80, s14, v78
	v_fma_f16 v80, v80, s14, v75
	v_add_f16_e32 v75, v32, v44
	v_add_f16_e32 v48, v48, v18
	v_fma_f16 v49, v75, -0.5, v49
	v_add_f16_e32 v48, v48, v36
	v_fma_f16 v75, v79, s13, v49
	v_sub_f16_e32 v18, v18, v32
	v_sub_f16_e32 v32, v36, v44
	v_fma_f16 v36, v79, s15, v49
	v_fma_f16 v75, v76, s16, v75
	v_add_f16_e32 v18, v18, v32
	v_fma_f16 v36, v76, s12, v36
	v_fma_f16 v32, v18, s14, v75
	;; [unrolled: 1-line block ×3, first 2 shown]
	v_mul_u32_u24_e32 v36, 55, v37
	v_add_lshl_u32 v75, v36, v38, 2
	v_pack_b32_f16 v36, v50, v85
	v_pack_b32_f16 v19, v86, v19
	ds_write2_b32 v75, v36, v19 offset1:11
	v_pack_b32_f16 v19, v88, v51
	v_pack_b32_f16 v12, v12, v15
	ds_write2_b32 v75, v19, v12 offset0:22 offset1:33
	v_pack_b32_f16 v12, v84, v29
	ds_write_b32 v75, v12 offset:176
	v_mul_u32_u24_e32 v12, 55, v39
	v_add_lshl_u32 v76, v12, v40, 2
	v_pack_b32_f16 v12, v16, v47
	v_pack_b32_f16 v15, v52, v35
	ds_write2_b32 v76, v12, v15 offset1:11
	v_pack_b32_f16 v12, v87, v77
	v_pack_b32_f16 v13, v13, v17
	ds_write2_b32 v76, v12, v13 offset0:22 offset1:33
	v_pack_b32_f16 v12, v46, v83
	v_add_f16_e32 v30, v30, v82
	v_add_f16_e32 v48, v48, v44
	ds_write_b32 v76, v12 offset:176
	v_mul_u32_u24_e32 v12, 55, v41
	v_add_lshl_u32 v77, v12, v42, 2
	v_pack_b32_f16 v12, v30, v48
	v_pack_b32_f16 v13, v89, v78
	ds_write2_b32 v77, v12, v13 offset1:11
	v_pack_b32_f16 v12, v90, v32
	v_pack_b32_f16 v13, v14, v18
	ds_write2_b32 v77, v12, v13 offset0:22 offset1:33
	v_pack_b32_f16 v12, v31, v80
	v_lshlrev_b32_e32 v44, 4, v64
	ds_write_b32 v77, v12 offset:176
	s_waitcnt lgkmcnt(0)
	; wave barrier
	s_waitcnt lgkmcnt(0)
	global_load_dwordx4 v[12:15], v44, s[4:5] offset:176
	v_mul_lo_u16_sdwa v16, v34, s0 dst_sel:DWORD dst_unused:UNUSED_PAD src0_sel:BYTE_0 src1_sel:DWORD
	v_lshrrev_b16_e32 v16, 13, v16
	v_mul_lo_u16_e32 v16, 55, v16
	v_sub_u16_e32 v48, v34, v16
	v_mov_b32_e32 v16, 4
	v_lshlrev_b32_sdwa v16, v16, v48 dst_sel:DWORD dst_unused:UNUSED_PAD src0_sel:DWORD src1_sel:BYTE_0
	global_load_dwordx4 v[16:19], v16, s[4:5] offset:176
	ds_read2_b32 v[29:30], v53 offset1:55
	ds_read2_b32 v[31:32], v53 offset0:110 offset1:165
	ds_read2_b32 v[35:36], v45 offset0:74 offset1:129
	;; [unrolled: 1-line block ×5, first 2 shown]
	s_waitcnt lgkmcnt(4)
	v_lshrrev_b32_e32 v51, 16, v32
	s_waitcnt lgkmcnt(3)
	v_lshrrev_b32_e32 v52, 16, v35
	;; [unrolled: 2-line block ×4, first 2 shown]
	ds_read2_b32 v[46:47], v27 offset0:38 offset1:93
	s_waitcnt lgkmcnt(1)
	v_lshrrev_b32_e32 v81, 16, v41
	v_lshrrev_b32_e32 v82, 16, v36
	;; [unrolled: 1-line block ×4, first 2 shown]
	s_waitcnt lgkmcnt(0)
	v_lshrrev_b32_e32 v83, 16, v46
	ds_read_b32 v85, v53 offset:3080
	v_lshrrev_b32_e32 v88, 16, v37
	v_lshrrev_b32_e32 v89, 16, v47
	;; [unrolled: 1-line block ×4, first 2 shown]
	s_waitcnt lgkmcnt(0)
	v_lshrrev_b32_e32 v90, 16, v85
	v_lshrrev_b32_e32 v86, 16, v31
	s_waitcnt lgkmcnt(0)
	; wave barrier
	v_mov_b32_e32 v91, s5
	v_add_co_u32_e64 v44, s[0:1], s4, v44
	v_lshlrev_b32_e32 v49, 3, v64
	v_addc_co_u32_e64 v91, s[0:1], 0, v91, s[0:1]
	s_waitcnt vmcnt(1)
	v_mul_f16_sdwa v92, v51, v12 dst_sel:DWORD dst_unused:UNUSED_PAD src0_sel:DWORD src1_sel:WORD_1
	v_fma_f16 v92, v32, v12, -v92
	v_mul_f16_sdwa v32, v32, v12 dst_sel:DWORD dst_unused:UNUSED_PAD src0_sel:DWORD src1_sel:WORD_1
	v_fma_f16 v32, v51, v12, v32
	v_mul_f16_sdwa v51, v52, v13 dst_sel:DWORD dst_unused:UNUSED_PAD src0_sel:DWORD src1_sel:WORD_1
	v_fma_f16 v51, v35, v13, -v51
	v_mul_f16_sdwa v35, v35, v13 dst_sel:DWORD dst_unused:UNUSED_PAD src0_sel:DWORD src1_sel:WORD_1
	v_fma_f16 v35, v52, v13, v35
	;; [unrolled: 4-line block ×8, first 2 shown]
	s_waitcnt vmcnt(0)
	v_mul_f16_sdwa v84, v87, v16 dst_sel:DWORD dst_unused:UNUSED_PAD src0_sel:DWORD src1_sel:WORD_1
	v_fma_f16 v84, v42, v16, -v84
	v_mul_f16_sdwa v42, v42, v16 dst_sel:DWORD dst_unused:UNUSED_PAD src0_sel:DWORD src1_sel:WORD_1
	v_fma_f16 v42, v87, v16, v42
	v_mul_f16_sdwa v87, v88, v17 dst_sel:DWORD dst_unused:UNUSED_PAD src0_sel:DWORD src1_sel:WORD_1
	v_fma_f16 v87, v37, v17, -v87
	v_mul_f16_sdwa v37, v37, v17 dst_sel:DWORD dst_unused:UNUSED_PAD src0_sel:DWORD src1_sel:WORD_1
	v_fma_f16 v37, v88, v17, v37
	v_mul_f16_sdwa v88, v89, v18 dst_sel:DWORD dst_unused:UNUSED_PAD src0_sel:DWORD src1_sel:WORD_1
	v_add_f16_e32 v93, v51, v52
	v_fma_f16 v88, v47, v18, -v88
	v_mul_f16_sdwa v47, v47, v18 dst_sel:DWORD dst_unused:UNUSED_PAD src0_sel:DWORD src1_sel:WORD_1
	v_fma_f16 v93, v93, -0.5, v29
	v_sub_f16_e32 v94, v32, v39
	v_fma_f16 v47, v89, v18, v47
	v_mul_f16_sdwa v89, v90, v19 dst_sel:DWORD dst_unused:UNUSED_PAD src0_sel:DWORD src1_sel:WORD_1
	v_fma_f16 v95, v94, s13, v93
	v_sub_f16_e32 v96, v35, v38
	v_sub_f16_e32 v97, v92, v51
	;; [unrolled: 1-line block ×3, first 2 shown]
	v_fma_f16 v93, v94, s15, v93
	v_fma_f16 v89, v85, v19, -v89
	v_mul_f16_sdwa v85, v85, v19 dst_sel:DWORD dst_unused:UNUSED_PAD src0_sel:DWORD src1_sel:WORD_1
	v_fma_f16 v95, v96, s12, v95
	v_add_f16_e32 v97, v97, v98
	v_fma_f16 v93, v96, s16, v93
	v_fma_f16 v85, v90, v19, v85
	v_add_f16_e32 v90, v29, v92
	v_fma_f16 v95, v97, s14, v95
	v_fma_f16 v93, v97, s14, v93
	v_add_f16_e32 v97, v92, v78
	v_add_f16_e32 v90, v90, v51
	v_fma_f16 v29, v97, -0.5, v29
	v_add_f16_e32 v90, v90, v52
	v_fma_f16 v97, v96, s15, v29
	v_fma_f16 v29, v96, s13, v29
	v_add_f16_e32 v96, v35, v38
	v_add_f16_e32 v90, v90, v78
	v_sub_f16_e32 v98, v51, v92
	v_sub_f16_e32 v99, v52, v78
	v_fma_f16 v96, v96, -0.5, v50
	v_sub_f16_e32 v78, v92, v78
	v_fma_f16 v97, v94, s12, v97
	v_add_f16_e32 v98, v98, v99
	v_fma_f16 v29, v94, s16, v29
	v_fma_f16 v92, v78, s15, v96
	v_sub_f16_e32 v51, v51, v52
	v_fma_f16 v97, v98, s14, v97
	v_fma_f16 v29, v98, s14, v29
	;; [unrolled: 1-line block ×3, first 2 shown]
	v_sub_f16_e32 v92, v32, v35
	v_sub_f16_e32 v98, v39, v38
	v_fma_f16 v96, v78, s13, v96
	v_add_f16_e32 v94, v50, v32
	v_add_f16_e32 v92, v92, v98
	v_fma_f16 v96, v51, s12, v96
	v_add_f16_e32 v94, v94, v35
	v_fma_f16 v52, v92, s14, v52
	v_fma_f16 v92, v92, s14, v96
	v_add_f16_e32 v96, v32, v39
	v_add_f16_e32 v94, v94, v38
	v_fma_f16 v50, v96, -0.5, v50
	v_add_f16_e32 v94, v94, v39
	v_fma_f16 v96, v51, s13, v50
	v_sub_f16_e32 v32, v35, v32
	v_sub_f16_e32 v35, v38, v39
	v_add_f16_e32 v39, v81, v82
	v_fma_f16 v96, v78, s16, v96
	v_add_f16_e32 v32, v32, v35
	v_fma_f16 v38, v51, s15, v50
	v_fma_f16 v39, v39, -0.5, v30
	v_sub_f16_e32 v50, v41, v40
	v_fma_f16 v35, v32, s14, v96
	v_fma_f16 v38, v78, s12, v38
	;; [unrolled: 1-line block ×3, first 2 shown]
	v_sub_f16_e32 v78, v36, v46
	v_sub_f16_e32 v96, v79, v81
	;; [unrolled: 1-line block ×3, first 2 shown]
	v_fma_f16 v39, v50, s15, v39
	v_fma_f16 v51, v78, s12, v51
	v_add_f16_e32 v96, v96, v98
	v_fma_f16 v39, v78, s16, v39
	v_fma_f16 v51, v96, s14, v51
	;; [unrolled: 1-line block ×3, first 2 shown]
	v_add_f16_e32 v96, v79, v83
	v_fma_f16 v32, v32, s14, v38
	v_add_f16_e32 v38, v30, v79
	v_fma_f16 v30, v96, -0.5, v30
	v_add_f16_e32 v38, v38, v81
	v_fma_f16 v96, v78, s15, v30
	v_fma_f16 v30, v78, s13, v30
	v_add_f16_e32 v78, v36, v46
	v_add_f16_e32 v38, v38, v82
	v_sub_f16_e32 v98, v81, v79
	v_sub_f16_e32 v99, v82, v83
	v_fma_f16 v78, v78, -0.5, v80
	v_sub_f16_e32 v79, v79, v83
	v_add_f16_e32 v38, v38, v83
	v_fma_f16 v96, v50, s12, v96
	v_add_f16_e32 v98, v98, v99
	v_fma_f16 v30, v50, s16, v30
	v_fma_f16 v83, v79, s15, v78
	v_sub_f16_e32 v81, v81, v82
	v_fma_f16 v96, v98, s14, v96
	v_fma_f16 v30, v98, s14, v30
	;; [unrolled: 1-line block ×3, first 2 shown]
	v_sub_f16_e32 v83, v41, v36
	v_sub_f16_e32 v98, v40, v46
	v_fma_f16 v78, v79, s13, v78
	v_add_f16_e32 v50, v80, v41
	v_add_f16_e32 v83, v83, v98
	v_fma_f16 v78, v81, s12, v78
	v_add_f16_e32 v50, v50, v36
	v_fma_f16 v82, v83, s14, v82
	v_fma_f16 v78, v83, s14, v78
	v_add_f16_e32 v83, v41, v40
	v_add_f16_e32 v50, v50, v46
	v_fma_f16 v80, v83, -0.5, v80
	v_add_f16_e32 v50, v50, v40
	v_fma_f16 v83, v81, s13, v80
	v_sub_f16_e32 v36, v36, v41
	v_sub_f16_e32 v40, v46, v40
	v_fma_f16 v41, v81, s15, v80
	v_add_f16_e32 v46, v87, v88
	v_fma_f16 v83, v79, s16, v83
	v_add_f16_e32 v36, v36, v40
	v_fma_f16 v41, v79, s12, v41
	v_fma_f16 v46, v46, -0.5, v31
	v_sub_f16_e32 v79, v42, v85
	v_fma_f16 v40, v36, s14, v83
	v_fma_f16 v80, v79, s13, v46
	v_sub_f16_e32 v81, v37, v47
	v_sub_f16_e32 v83, v84, v87
	v_sub_f16_e32 v98, v89, v88
	v_fma_f16 v46, v79, s15, v46
	v_fma_f16 v80, v81, s12, v80
	v_add_f16_e32 v83, v83, v98
	v_fma_f16 v46, v81, s16, v46
	v_fma_f16 v80, v83, s14, v80
	v_fma_f16 v46, v83, s14, v46
	v_add_f16_e32 v83, v84, v89
	v_fma_f16 v36, v36, s14, v41
	v_add_f16_e32 v41, v31, v84
	v_fma_f16 v31, v83, -0.5, v31
	v_add_f16_e32 v41, v41, v87
	v_fma_f16 v83, v81, s15, v31
	v_fma_f16 v31, v81, s13, v31
	v_add_f16_e32 v81, v37, v47
	v_add_f16_e32 v41, v41, v88
	v_sub_f16_e32 v98, v87, v84
	v_sub_f16_e32 v99, v88, v89
	v_fma_f16 v81, v81, -0.5, v86
	v_sub_f16_e32 v84, v84, v89
	v_add_f16_e32 v41, v41, v89
	v_fma_f16 v83, v79, s12, v83
	v_add_f16_e32 v98, v98, v99
	v_fma_f16 v31, v79, s16, v31
	v_fma_f16 v89, v84, s15, v81
	v_sub_f16_e32 v87, v87, v88
	v_fma_f16 v83, v98, s14, v83
	v_fma_f16 v31, v98, s14, v31
	;; [unrolled: 1-line block ×3, first 2 shown]
	v_sub_f16_e32 v89, v42, v37
	v_sub_f16_e32 v98, v85, v47
	v_fma_f16 v81, v84, s13, v81
	v_add_f16_e32 v89, v89, v98
	v_fma_f16 v81, v87, s12, v81
	v_add_f16_e32 v79, v86, v42
	v_fma_f16 v88, v89, s14, v88
	v_fma_f16 v81, v89, s14, v81
	v_add_f16_e32 v89, v42, v85
	v_add_f16_e32 v79, v79, v37
	v_fma_f16 v86, v89, -0.5, v86
	v_add_f16_e32 v79, v79, v47
	v_fma_f16 v89, v87, s13, v86
	v_sub_f16_e32 v37, v37, v42
	v_sub_f16_e32 v42, v47, v85
	v_fma_f16 v47, v87, s15, v86
	v_fma_f16 v89, v84, s16, v89
	v_add_f16_e32 v37, v37, v42
	v_fma_f16 v47, v84, s12, v47
	v_fma_f16 v42, v37, s14, v89
	;; [unrolled: 1-line block ×3, first 2 shown]
	v_pack_b32_f16 v47, v90, v94
	v_pack_b32_f16 v52, v95, v52
	;; [unrolled: 1-line block ×4, first 2 shown]
	ds_write2_b32 v53, v47, v52 offset1:55
	ds_write2_b32 v53, v35, v29 offset0:110 offset1:165
	v_pack_b32_f16 v29, v93, v92
	v_pack_b32_f16 v32, v38, v50
	ds_write2_b32 v43, v29, v32 offset0:92 offset1:147
	v_pack_b32_f16 v29, v51, v82
	v_pack_b32_f16 v32, v96, v40
	;; [unrolled: 3-line block ×3, first 2 shown]
	ds_write2_b32 v45, v29, v30 offset0:184 offset1:239
	v_mov_b32_e32 v29, 2
	v_add_f16_e32 v79, v79, v85
	v_lshlrev_b32_sdwa v78, v29, v48 dst_sel:DWORD dst_unused:UNUSED_PAD src0_sel:DWORD src1_sel:BYTE_0
	v_pack_b32_f16 v29, v41, v79
	v_pack_b32_f16 v30, v80, v88
	v_add_u32_e32 v32, 0x800, v78
	ds_write2_b32 v32, v29, v30 offset0:38 offset1:93
	v_pack_b32_f16 v29, v83, v42
	v_pack_b32_f16 v30, v31, v37
	ds_write2_b32 v32, v29, v30 offset0:148 offset1:203
	v_pack_b32_f16 v29, v46, v81
	ds_write_b32 v78, v29 offset:3080
	v_sub_co_u32_e64 v29, s[0:1], v44, v49
	v_subbrev_co_u32_e64 v30, s[0:1], 0, v91, s[0:1]
	s_waitcnt lgkmcnt(0)
	; wave barrier
	s_waitcnt lgkmcnt(0)
	global_load_dwordx2 v[29:30], v[29:30], off offset:1056
	v_lshlrev_b32_e32 v31, 3, v33
	global_load_dwordx2 v[31:32], v31, s[4:5] offset:1056
	v_lshlrev_b32_e32 v33, 3, v34
	global_load_dwordx2 v[33:34], v33, s[4:5] offset:1056
	v_add_u32_e32 v35, 0x528, v49
	global_load_dwordx2 v[35:36], v35, s[4:5] offset:1056
	v_add_u32_e32 v37, 0x6e0, v49
	global_load_dwordx2 v[37:38], v37, s[4:5] offset:1056
	ds_read2_b32 v[39:40], v53 offset1:55
	ds_read2_b32 v[41:42], v43 offset0:92 offset1:147
	ds_read2_b32 v[46:47], v27 offset0:38 offset1:93
	;; [unrolled: 1-line block ×5, first 2 shown]
	s_waitcnt lgkmcnt(4)
	v_lshrrev_b32_e32 v52, 16, v42
	s_waitcnt lgkmcnt(3)
	v_lshrrev_b32_e32 v83, 16, v46
	;; [unrolled: 2-line block ×3, first 2 shown]
	v_lshrrev_b32_e32 v86, 16, v47
	v_lshrrev_b32_e32 v88, 16, v49
	s_waitcnt lgkmcnt(1)
	v_lshrrev_b32_e32 v89, 16, v79
	s_waitcnt lgkmcnt(0)
	v_lshrrev_b32_e32 v92, 16, v81
	ds_read_b32 v91, v53 offset:3080
	v_lshrrev_b32_e32 v93, 16, v80
	v_lshrrev_b32_e32 v95, 16, v82
	;; [unrolled: 1-line block ×3, first 2 shown]
	s_movk_i32 s0, 0x3aee
	s_waitcnt lgkmcnt(0)
	v_lshrrev_b32_e32 v96, 16, v91
	s_mov_b32 s1, 0xbaee
	ds_read2_b32 v[50:51], v53 offset0:110 offset1:165
	v_lshrrev_b32_e32 v84, 16, v40
	v_lshrrev_b32_e32 v94, 16, v41
	s_add_u32 s4, s2, 0xce4
	s_addc_u32 s5, s3, 0
	s_waitcnt lgkmcnt(0)
	v_lshrrev_b32_e32 v87, 16, v50
	v_lshrrev_b32_e32 v90, 16, v51
	s_waitcnt vmcnt(4)
	v_mul_f16_sdwa v97, v52, v29 dst_sel:DWORD dst_unused:UNUSED_PAD src0_sel:DWORD src1_sel:WORD_1
	v_fma_f16 v97, v42, v29, -v97
	v_mul_f16_sdwa v42, v42, v29 dst_sel:DWORD dst_unused:UNUSED_PAD src0_sel:DWORD src1_sel:WORD_1
	v_fma_f16 v42, v52, v29, v42
	v_mul_f16_sdwa v52, v83, v30 dst_sel:DWORD dst_unused:UNUSED_PAD src0_sel:DWORD src1_sel:WORD_1
	v_fma_f16 v52, v46, v30, -v52
	v_mul_f16_sdwa v46, v46, v30 dst_sel:DWORD dst_unused:UNUSED_PAD src0_sel:DWORD src1_sel:WORD_1
	v_fma_f16 v46, v83, v30, v46
	s_waitcnt vmcnt(3)
	v_mul_f16_sdwa v83, v85, v31 dst_sel:DWORD dst_unused:UNUSED_PAD src0_sel:DWORD src1_sel:WORD_1
	v_fma_f16 v83, v48, v31, -v83
	v_mul_f16_sdwa v48, v48, v31 dst_sel:DWORD dst_unused:UNUSED_PAD src0_sel:DWORD src1_sel:WORD_1
	v_fma_f16 v48, v85, v31, v48
	v_mul_f16_sdwa v85, v86, v32 dst_sel:DWORD dst_unused:UNUSED_PAD src0_sel:DWORD src1_sel:WORD_1
	v_fma_f16 v85, v47, v32, -v85
	v_mul_f16_sdwa v47, v47, v32 dst_sel:DWORD dst_unused:UNUSED_PAD src0_sel:DWORD src1_sel:WORD_1
	v_fma_f16 v47, v86, v32, v47
	;; [unrolled: 9-line block ×4, first 2 shown]
	s_waitcnt vmcnt(0)
	v_mul_f16_sdwa v93, v95, v37 dst_sel:DWORD dst_unused:UNUSED_PAD src0_sel:DWORD src1_sel:WORD_1
	v_fma_f16 v93, v82, v37, -v93
	v_mul_f16_sdwa v82, v82, v37 dst_sel:DWORD dst_unused:UNUSED_PAD src0_sel:DWORD src1_sel:WORD_1
	v_fma_f16 v82, v95, v37, v82
	v_mul_f16_sdwa v95, v96, v38 dst_sel:DWORD dst_unused:UNUSED_PAD src0_sel:DWORD src1_sel:WORD_1
	v_fma_f16 v95, v91, v38, -v95
	v_mul_f16_sdwa v91, v91, v38 dst_sel:DWORD dst_unused:UNUSED_PAD src0_sel:DWORD src1_sel:WORD_1
	v_add_f16_e32 v98, v97, v52
	v_fma_f16 v91, v96, v38, v91
	v_add_f16_e32 v96, v39, v97
	v_fma_f16 v39, v98, -0.5, v39
	v_sub_f16_e32 v98, v42, v46
	v_fma_f16 v99, v98, s0, v39
	v_fma_f16 v98, v98, s1, v39
	v_add_f16_e32 v39, v44, v42
	v_add_f16_e32 v100, v39, v46
	;; [unrolled: 1-line block ×3, first 2 shown]
	v_fma_f16 v39, v39, -0.5, v44
	v_sub_f16_e32 v42, v97, v52
	v_fma_f16 v44, v42, s1, v39
	v_fma_f16 v46, v42, s0, v39
	v_add_f16_e32 v39, v40, v83
	v_add_f16_e32 v96, v96, v52
	;; [unrolled: 1-line block ×4, first 2 shown]
	v_fma_f16 v39, v39, -0.5, v40
	v_sub_f16_e32 v40, v48, v47
	v_fma_f16 v97, v40, s0, v39
	v_fma_f16 v101, v40, s1, v39
	v_add_f16_e32 v39, v84, v48
	v_add_f16_e32 v102, v39, v47
	v_add_f16_e32 v39, v48, v47
	v_fma_f16 v39, v39, -0.5, v84
	v_sub_f16_e32 v40, v83, v85
	v_fma_f16 v47, v40, s1, v39
	v_fma_f16 v48, v40, s0, v39
	v_add_f16_e32 v39, v50, v86
	v_add_f16_e32 v83, v39, v88
	v_add_f16_e32 v39, v86, v88
	;; [unrolled: 7-line block ×5, first 2 shown]
	v_fma_f16 v40, v40, -0.5, v90
	v_sub_f16_e32 v42, v89, v92
	v_fma_f16 v89, v42, s1, v40
	v_fma_f16 v79, v42, s0, v40
	v_add_f16_e32 v42, v93, v95
	v_fma_f16 v42, v42, -0.5, v41
	v_sub_f16_e32 v80, v82, v91
	v_add_f16_e32 v81, v82, v91
	v_pack_b32_f16 v44, v99, v44
	v_add_f16_e32 v40, v41, v93
	v_fma_f16 v41, v80, s0, v42
	v_fma_f16 v42, v80, s1, v42
	v_add_f16_e32 v80, v94, v82
	v_fma_f16 v82, v81, -0.5, v94
	v_sub_f16_e32 v90, v93, v95
	ds_write_b32 v53, v44 offset:1100
	v_pack_b32_f16 v44, v98, v46
	v_fma_f16 v81, v90, s1, v82
	v_fma_f16 v82, v90, s0, v82
	v_pack_b32_f16 v90, v96, v100
	ds_write_b32 v53, v44 offset:2200
	v_pack_b32_f16 v44, v52, v102
	ds_write2_b32 v53, v90, v44 offset1:55
	v_pack_b32_f16 v44, v97, v47
	v_pack_b32_f16 v46, v101, v48
	;; [unrolled: 1-line block ×3, first 2 shown]
	ds_write2_b32 v45, v44, v48 offset0:74 offset1:129
	v_pack_b32_f16 v44, v84, v86
	v_add_f16_e32 v40, v40, v95
	v_add_f16_e32 v80, v80, v91
	v_pack_b32_f16 v47, v83, v85
	ds_write2_b32 v27, v46, v44 offset0:93 offset1:148
	v_pack_b32_f16 v44, v87, v88
	v_pack_b32_f16 v46, v39, v79
	ds_write2_b32 v53, v47, v44 offset0:110 offset1:165
	ds_write_b32 v53, v46 offset:2860
	v_pack_b32_f16 v46, v40, v80
	v_pack_b32_f16 v44, v51, v89
	ds_write_b32 v53, v46 offset:880
	v_pack_b32_f16 v46, v41, v81
	ds_write2_b32 v45, v44, v46 offset0:184 offset1:239
	v_pack_b32_f16 v44, v42, v82
	ds_write_b32 v53, v44 offset:3080
	s_waitcnt lgkmcnt(0)
	; wave barrier
	s_waitcnt lgkmcnt(0)
	global_load_dword v44, v[20:21], off offset:3300
	global_load_dword v48, v53, s[4:5] offset:300
	global_load_dword v49, v53, s[4:5] offset:600
	;; [unrolled: 1-line block ×10, first 2 shown]
	ds_read2_b32 v[46:47], v53 offset1:75
	s_waitcnt lgkmcnt(0)
	v_lshrrev_b32_e32 v88, 16, v46
	s_waitcnt vmcnt(10)
	v_mul_f16_sdwa v89, v88, v44 dst_sel:DWORD dst_unused:UNUSED_PAD src0_sel:DWORD src1_sel:WORD_1
	v_fma_f16 v89, v46, v44, -v89
	v_mul_f16_sdwa v46, v46, v44 dst_sel:DWORD dst_unused:UNUSED_PAD src0_sel:DWORD src1_sel:WORD_1
	v_fma_f16 v44, v88, v44, v46
	v_lshrrev_b32_e32 v46, 16, v47
	s_waitcnt vmcnt(9)
	v_mul_f16_sdwa v88, v46, v48 dst_sel:DWORD dst_unused:UNUSED_PAD src0_sel:DWORD src1_sel:WORD_1
	v_fma_f16 v88, v47, v48, -v88
	v_mul_f16_sdwa v47, v47, v48 dst_sel:DWORD dst_unused:UNUSED_PAD src0_sel:DWORD src1_sel:WORD_1
	v_fma_f16 v46, v46, v48, v47
	v_pack_b32_f16 v44, v89, v44
	v_pack_b32_f16 v46, v88, v46
	ds_write2_b32 v53, v44, v46 offset1:75
	ds_read_b32 v88, v53 offset:3000
	ds_read2_b32 v[46:47], v53 offset0:150 offset1:225
	s_waitcnt lgkmcnt(0)
	v_lshrrev_b32_e32 v44, 16, v46
	s_waitcnt vmcnt(8)
	v_mul_f16_sdwa v48, v44, v49 dst_sel:DWORD dst_unused:UNUSED_PAD src0_sel:DWORD src1_sel:WORD_1
	v_fma_f16 v48, v46, v49, -v48
	v_mul_f16_sdwa v46, v46, v49 dst_sel:DWORD dst_unused:UNUSED_PAD src0_sel:DWORD src1_sel:WORD_1
	v_fma_f16 v44, v44, v49, v46
	v_lshrrev_b32_e32 v46, 16, v47
	v_pack_b32_f16 v44, v48, v44
	s_waitcnt vmcnt(7)
	v_mul_f16_sdwa v48, v46, v50 dst_sel:DWORD dst_unused:UNUSED_PAD src0_sel:DWORD src1_sel:WORD_1
	v_fma_f16 v89, v47, v50, -v48
	ds_read2_b32 v[48:49], v45 offset0:44 offset1:119
	v_mul_f16_sdwa v47, v47, v50 dst_sel:DWORD dst_unused:UNUSED_PAD src0_sel:DWORD src1_sel:WORD_1
	v_fma_f16 v46, v46, v50, v47
	v_pack_b32_f16 v46, v89, v46
	ds_write2_b32 v53, v44, v46 offset0:150 offset1:225
	s_waitcnt lgkmcnt(1)
	v_lshrrev_b32_e32 v44, 16, v48
	s_waitcnt vmcnt(6)
	v_mul_f16_sdwa v46, v44, v51 dst_sel:DWORD dst_unused:UNUSED_PAD src0_sel:DWORD src1_sel:WORD_1
	v_mul_f16_sdwa v47, v48, v51 dst_sel:DWORD dst_unused:UNUSED_PAD src0_sel:DWORD src1_sel:WORD_1
	v_fma_f16 v46, v48, v51, -v46
	v_fma_f16 v44, v44, v51, v47
	v_pack_b32_f16 v44, v46, v44
	v_lshrrev_b32_e32 v46, 16, v49
	s_waitcnt vmcnt(5)
	v_mul_f16_sdwa v47, v46, v52 dst_sel:DWORD dst_unused:UNUSED_PAD src0_sel:DWORD src1_sel:WORD_1
	v_fma_f16 v48, v49, v52, -v47
	v_add_u32_e32 v47, 0x600, v53
	ds_read2_b32 v[50:51], v47 offset0:66 offset1:141
	v_mul_f16_sdwa v49, v49, v52 dst_sel:DWORD dst_unused:UNUSED_PAD src0_sel:DWORD src1_sel:WORD_1
	v_fma_f16 v46, v46, v52, v49
	v_pack_b32_f16 v46, v48, v46
	ds_write2_b32 v45, v44, v46 offset0:44 offset1:119
	s_waitcnt lgkmcnt(1)
	v_lshrrev_b32_e32 v44, 16, v50
	s_waitcnt vmcnt(4)
	v_mul_f16_sdwa v46, v44, v83 dst_sel:DWORD dst_unused:UNUSED_PAD src0_sel:DWORD src1_sel:WORD_1
	v_mul_f16_sdwa v48, v50, v83 dst_sel:DWORD dst_unused:UNUSED_PAD src0_sel:DWORD src1_sel:WORD_1
	v_fma_f16 v46, v50, v83, -v46
	v_fma_f16 v44, v44, v83, v48
	v_pack_b32_f16 v44, v46, v44
	v_lshrrev_b32_e32 v46, 16, v51
	s_waitcnt vmcnt(3)
	v_mul_f16_sdwa v48, v46, v84 dst_sel:DWORD dst_unused:UNUSED_PAD src0_sel:DWORD src1_sel:WORD_1
	v_fma_f16 v50, v51, v84, -v48
	ds_read2_b32 v[48:49], v27 offset0:88 offset1:163
	v_mul_f16_sdwa v51, v51, v84 dst_sel:DWORD dst_unused:UNUSED_PAD src0_sel:DWORD src1_sel:WORD_1
	v_fma_f16 v46, v46, v84, v51
	v_pack_b32_f16 v46, v50, v46
	ds_write2_b32 v47, v44, v46 offset0:66 offset1:141
	s_waitcnt lgkmcnt(1)
	v_lshrrev_b32_e32 v44, 16, v48
	s_waitcnt vmcnt(2)
	v_mul_f16_sdwa v46, v44, v85 dst_sel:DWORD dst_unused:UNUSED_PAD src0_sel:DWORD src1_sel:WORD_1
	v_fma_f16 v46, v48, v85, -v46
	v_mul_f16_sdwa v48, v48, v85 dst_sel:DWORD dst_unused:UNUSED_PAD src0_sel:DWORD src1_sel:WORD_1
	v_fma_f16 v44, v44, v85, v48
	v_pack_b32_f16 v44, v46, v44
	v_lshrrev_b32_e32 v46, 16, v49
	s_waitcnt vmcnt(1)
	v_mul_f16_sdwa v48, v46, v86 dst_sel:DWORD dst_unused:UNUSED_PAD src0_sel:DWORD src1_sel:WORD_1
	v_fma_f16 v48, v49, v86, -v48
	v_mul_f16_sdwa v49, v49, v86 dst_sel:DWORD dst_unused:UNUSED_PAD src0_sel:DWORD src1_sel:WORD_1
	v_fma_f16 v46, v46, v86, v49
	v_pack_b32_f16 v46, v48, v46
	ds_write2_b32 v27, v44, v46 offset0:88 offset1:163
	v_lshrrev_b32_e32 v44, 16, v88
	s_waitcnt vmcnt(0)
	v_mul_f16_sdwa v46, v44, v87 dst_sel:DWORD dst_unused:UNUSED_PAD src0_sel:DWORD src1_sel:WORD_1
	v_mul_f16_sdwa v48, v88, v87 dst_sel:DWORD dst_unused:UNUSED_PAD src0_sel:DWORD src1_sel:WORD_1
	v_fma_f16 v46, v88, v87, -v46
	v_fma_f16 v44, v44, v87, v48
	v_pack_b32_f16 v44, v46, v44
	ds_write_b32 v53, v44 offset:3000
	s_and_saveexec_b64 s[2:3], vcc
	s_cbranch_execz .LBB0_9
; %bb.8:
	v_add_co_u32_e64 v48, s[0:1], s4, v53
	v_mov_b32_e32 v44, s5
	v_addc_co_u32_e64 v49, s[0:1], 0, v44, s[0:1]
	global_load_dword v46, v[48:49], off offset:220
	ds_read2_b32 v[50:51], v53 offset0:55 offset1:130
	s_waitcnt lgkmcnt(0)
	v_lshrrev_b32_e32 v44, 16, v50
	s_waitcnt vmcnt(0)
	v_mul_f16_sdwa v52, v44, v46 dst_sel:DWORD dst_unused:UNUSED_PAD src0_sel:DWORD src1_sel:WORD_1
	v_fma_f16 v52, v50, v46, -v52
	v_mul_f16_sdwa v50, v50, v46 dst_sel:DWORD dst_unused:UNUSED_PAD src0_sel:DWORD src1_sel:WORD_1
	v_fma_f16 v44, v44, v46, v50
	global_load_dword v50, v[48:49], off offset:520
	v_lshrrev_b32_e32 v46, 16, v51
	v_pack_b32_f16 v44, v52, v44
	s_waitcnt vmcnt(0)
	v_mul_f16_sdwa v52, v46, v50 dst_sel:DWORD dst_unused:UNUSED_PAD src0_sel:DWORD src1_sel:WORD_1
	v_fma_f16 v52, v51, v50, -v52
	v_mul_f16_sdwa v51, v51, v50 dst_sel:DWORD dst_unused:UNUSED_PAD src0_sel:DWORD src1_sel:WORD_1
	v_fma_f16 v46, v46, v50, v51
	v_pack_b32_f16 v46, v52, v46
	ds_write2_b32 v53, v44, v46 offset0:55 offset1:130
	global_load_dword v46, v[48:49], off offset:820
	ds_read2_b32 v[50:51], v43 offset0:77 offset1:152
	s_waitcnt lgkmcnt(0)
	v_lshrrev_b32_e32 v44, 16, v50
	s_waitcnt vmcnt(0)
	v_mul_f16_sdwa v52, v44, v46 dst_sel:DWORD dst_unused:UNUSED_PAD src0_sel:DWORD src1_sel:WORD_1
	v_fma_f16 v52, v50, v46, -v52
	v_mul_f16_sdwa v50, v50, v46 dst_sel:DWORD dst_unused:UNUSED_PAD src0_sel:DWORD src1_sel:WORD_1
	v_fma_f16 v44, v44, v46, v50
	global_load_dword v50, v[48:49], off offset:1120
	v_lshrrev_b32_e32 v46, 16, v51
	v_pack_b32_f16 v44, v52, v44
	s_waitcnt vmcnt(0)
	v_mul_f16_sdwa v52, v46, v50 dst_sel:DWORD dst_unused:UNUSED_PAD src0_sel:DWORD src1_sel:WORD_1
	v_fma_f16 v52, v51, v50, -v52
	v_mul_f16_sdwa v51, v51, v50 dst_sel:DWORD dst_unused:UNUSED_PAD src0_sel:DWORD src1_sel:WORD_1
	v_fma_f16 v46, v46, v50, v51
	global_load_dword v50, v[48:49], off offset:1420
	v_pack_b32_f16 v46, v52, v46
	ds_write2_b32 v43, v44, v46 offset0:77 offset1:152
	ds_read2_b32 v[43:44], v45 offset0:99 offset1:174
	s_waitcnt lgkmcnt(0)
	v_lshrrev_b32_e32 v46, 16, v43
	s_waitcnt vmcnt(0)
	v_mul_f16_sdwa v51, v46, v50 dst_sel:DWORD dst_unused:UNUSED_PAD src0_sel:DWORD src1_sel:WORD_1
	v_fma_f16 v51, v43, v50, -v51
	v_mul_f16_sdwa v43, v43, v50 dst_sel:DWORD dst_unused:UNUSED_PAD src0_sel:DWORD src1_sel:WORD_1
	v_fma_f16 v43, v46, v50, v43
	global_load_dword v50, v[48:49], off offset:1720
	v_lshrrev_b32_e32 v46, 16, v44
	v_pack_b32_f16 v43, v51, v43
	s_waitcnt vmcnt(0)
	v_mul_f16_sdwa v51, v46, v50 dst_sel:DWORD dst_unused:UNUSED_PAD src0_sel:DWORD src1_sel:WORD_1
	v_fma_f16 v51, v44, v50, -v51
	v_mul_f16_sdwa v44, v44, v50 dst_sel:DWORD dst_unused:UNUSED_PAD src0_sel:DWORD src1_sel:WORD_1
	v_fma_f16 v44, v46, v50, v44
	global_load_dword v50, v[48:49], off offset:2020
	v_pack_b32_f16 v44, v51, v44
	ds_write2_b32 v45, v43, v44 offset0:99 offset1:174
	;; [unrolled: 19-line block ×4, first 2 shown]
	ds_read_b32 v43, v53 offset:3220
	s_waitcnt lgkmcnt(0)
	v_lshrrev_b32_e32 v44, 16, v43
	s_waitcnt vmcnt(0)
	v_mul_f16_sdwa v48, v44, v46 dst_sel:DWORD dst_unused:UNUSED_PAD src0_sel:DWORD src1_sel:WORD_1
	v_fma_f16 v48, v43, v46, -v48
	v_mul_f16_sdwa v43, v43, v46 dst_sel:DWORD dst_unused:UNUSED_PAD src0_sel:DWORD src1_sel:WORD_1
	v_fma_f16 v43, v44, v46, v43
	v_pack_b32_f16 v43, v48, v43
	ds_write_b32 v53, v43 offset:3220
.LBB0_9:
	s_or_b64 exec, exec, s[2:3]
	s_waitcnt lgkmcnt(0)
	; wave barrier
	s_waitcnt lgkmcnt(0)
	ds_read2_b32 v[43:44], v53 offset1:75
	ds_read2_b32 v[49:50], v53 offset0:150 offset1:225
	ds_read2_b32 v[45:46], v45 offset0:44 offset1:119
	;; [unrolled: 1-line block ×4, first 2 shown]
	ds_read_b32 v83, v53 offset:3000
	v_lshrrev_b32_e32 v27, 16, v73
	s_and_saveexec_b64 s[0:1], vcc
	s_cbranch_execz .LBB0_11
; %bb.10:
	v_add_u32_e32 v23, 0x200, v53
	ds_read2_b32 v[41:42], v23 offset0:77 offset1:152
	v_add_u32_e32 v23, 0x400, v53
	ds_read2_b32 v[25:26], v23 offset0:99 offset1:174
	;; [unrolled: 2-line block ×4, first 2 shown]
	ds_read2_b32 v[23:24], v23 offset0:143 offset1:218
	ds_read_b32 v70, v53 offset:3220
	s_mov_b32 s2, 0xffff
	s_waitcnt lgkmcnt(5)
	v_lshrrev_b32_e32 v81, 16, v41
	s_waitcnt lgkmcnt(2)
	v_lshrrev_b32_e32 v79, 16, v39
	v_lshrrev_b32_e32 v80, 16, v40
	;; [unrolled: 1-line block ×7, first 2 shown]
	s_waitcnt lgkmcnt(1)
	v_lshrrev_b32_e32 v71, 16, v23
	v_lshrrev_b32_e32 v69, 16, v24
	s_waitcnt lgkmcnt(0)
	v_bfi_b32 v26, s2, v26, v70
.LBB0_11:
	s_or_b64 exec, exec, s[0:1]
	s_waitcnt lgkmcnt(5)
	v_pk_add_f16 v84, v43, v44
	s_waitcnt lgkmcnt(4)
	v_pk_add_f16 v84, v84, v49
	v_pk_add_f16 v84, v84, v50
	s_waitcnt lgkmcnt(3)
	v_pk_add_f16 v84, v84, v45
	;; [unrolled: 3-line block ×5, first 2 shown]
	v_pk_add_f16 v44, v44, v83 neg_lo:[0,1] neg_hi:[0,1]
	s_mov_b32 s4, 0xb853
	v_pk_add_f16 v84, v84, v83
	v_pk_mul_f16 v83, v44, s4 op_sel_hi:[1,0]
	s_movk_i32 s2, 0x3abb
	s_mov_b32 s5, 0xbb47
	v_pk_add_f16 v100, v52, v49
	v_pk_add_f16 v49, v49, v52 neg_lo:[0,1] neg_hi:[0,1]
	v_pk_fma_f16 v86, v85, s2, v83 op_sel:[0,0,1] op_sel_hi:[1,0,0]
	v_pk_fma_f16 v83, v85, s2, v83 op_sel:[0,0,1] op_sel_hi:[1,0,0] neg_lo:[0,0,1] neg_hi:[0,0,1]
	s_mov_b32 s0, 0xffff
	s_movk_i32 s3, 0x36a6
	v_pk_mul_f16 v52, v49, s5 op_sel_hi:[1,0]
	v_bfi_b32 v87, s0, v86, v83
	v_pk_fma_f16 v101, v100, s3, v52 op_sel:[0,0,1] op_sel_hi:[1,0,0]
	v_pk_fma_f16 v52, v100, s3, v52 op_sel:[0,0,1] op_sel_hi:[1,0,0] neg_lo:[0,0,1] neg_hi:[0,0,1]
	v_pk_add_f16 v87, v43, v87
	v_mul_f16_sdwa v88, v44, s5 dst_sel:DWORD dst_unused:UNUSED_PAD src0_sel:WORD_1 src1_sel:DWORD
	s_mov_b32 s15, 0xba0c
	v_bfi_b32 v102, s0, v101, v52
	v_fma_f16 v89, v85, s3, v88
	s_mov_b32 s14, 0xb93d
	v_pk_add_f16 v87, v102, v87
	v_mul_f16_sdwa v102, v49, s15 dst_sel:DWORD dst_unused:UNUSED_PAD src0_sel:WORD_1 src1_sel:DWORD
	v_add_f16_e32 v89, v43, v89
	v_mul_f16_sdwa v90, v85, s3 dst_sel:DWORD dst_unused:UNUSED_PAD src0_sel:WORD_1 src1_sel:DWORD
	s_movk_i32 s18, 0x3b47
	v_fma_f16 v88, v85, s3, -v88
	v_fma_f16 v103, v100, s14, v102
	v_fma_f16 v91, v44, s18, v90
	v_add_f16_e32 v88, v43, v88
	v_fma_f16 v90, v44, s5, v90
	s_mov_b32 s13, 0xbbeb
	v_add_f16_e32 v89, v103, v89
	v_mul_f16_sdwa v103, v100, s14 dst_sel:DWORD dst_unused:UNUSED_PAD src0_sel:WORD_1 src1_sel:DWORD
	v_fma_f16 v102, v100, s14, -v102
	v_add_f16_sdwa v90, v43, v90 dst_sel:DWORD dst_unused:UNUSED_PAD src0_sel:WORD_1 src1_sel:DWORD
	v_mul_f16_sdwa v92, v44, s13 dst_sel:DWORD dst_unused:UNUSED_PAD src0_sel:WORD_1 src1_sel:DWORD
	s_mov_b32 s12, 0xb08e
	v_add_f16_e32 v88, v102, v88
	v_fma_f16 v102, v49, s15, v103
	s_movk_i32 s20, 0x3482
	v_fma_f16 v93, v85, s12, v92
	s_movk_i32 s22, 0x3a0c
	v_add_f16_e32 v90, v102, v90
	v_mul_f16_sdwa v102, v49, s20 dst_sel:DWORD dst_unused:UNUSED_PAD src0_sel:WORD_1 src1_sel:DWORD
	s_mov_b32 s17, 0xbbad
	v_add_f16_e32 v93, v43, v93
	v_mul_f16_sdwa v94, v85, s12 dst_sel:DWORD dst_unused:UNUSED_PAD src0_sel:WORD_1 src1_sel:DWORD
	s_movk_i32 s16, 0x3beb
	v_fma_f16 v92, v85, s12, -v92
	v_fma_f16 v104, v49, s22, v103
	v_fma_f16 v103, v100, s17, v102
	;; [unrolled: 1-line block ×3, first 2 shown]
	v_add_f16_e32 v92, v43, v92
	v_fma_f16 v94, v44, s13, v94
	v_add_f16_e32 v93, v103, v93
	v_mul_f16_sdwa v103, v100, s17 dst_sel:DWORD dst_unused:UNUSED_PAD src0_sel:WORD_1 src1_sel:DWORD
	v_fma_f16 v102, v100, s17, -v102
	v_add_f16_sdwa v94, v43, v94 dst_sel:DWORD dst_unused:UNUSED_PAD src0_sel:WORD_1 src1_sel:DWORD
	v_mul_f16_sdwa v96, v44, s15 dst_sel:DWORD dst_unused:UNUSED_PAD src0_sel:WORD_1 src1_sel:DWORD
	v_add_f16_e32 v92, v102, v92
	v_fma_f16 v102, v49, s20, v103
	v_add_f16_sdwa v91, v43, v91 dst_sel:DWORD dst_unused:UNUSED_PAD src0_sel:WORD_1 src1_sel:DWORD
	v_fma_f16 v97, v85, s14, v96
	s_mov_b32 s19, 0xb482
	v_add_f16_e32 v94, v102, v94
	v_mul_f16_sdwa v102, v49, s16 dst_sel:DWORD dst_unused:UNUSED_PAD src0_sel:WORD_1 src1_sel:DWORD
	v_add_f16_e32 v97, v43, v97
	v_mul_f16_sdwa v98, v85, s14 dst_sel:DWORD dst_unused:UNUSED_PAD src0_sel:WORD_1 src1_sel:DWORD
	v_fma_f16 v96, v85, s14, -v96
	v_add_f16_e32 v91, v104, v91
	v_fma_f16 v104, v49, s19, v103
	v_fma_f16 v103, v100, s12, v102
	;; [unrolled: 1-line block ×3, first 2 shown]
	v_add_f16_e32 v96, v43, v96
	v_fma_f16 v98, v44, s15, v98
	v_add_f16_e32 v97, v103, v97
	v_mul_f16_sdwa v103, v100, s12 dst_sel:DWORD dst_unused:UNUSED_PAD src0_sel:WORD_1 src1_sel:DWORD
	v_fma_f16 v102, v100, s12, -v102
	v_add_f16_sdwa v98, v43, v98 dst_sel:DWORD dst_unused:UNUSED_PAD src0_sel:WORD_1 src1_sel:DWORD
	v_add_f16_e32 v96, v102, v96
	v_fma_f16 v102, v49, s16, v103
	v_add_f16_e32 v98, v102, v98
	v_pk_add_f16 v102, v51, v50
	v_pk_add_f16 v50, v50, v51 neg_lo:[0,1] neg_hi:[0,1]
	v_add_f16_sdwa v95, v43, v95 dst_sel:DWORD dst_unused:UNUSED_PAD src0_sel:WORD_1 src1_sel:DWORD
	v_pk_mul_f16 v51, v50, s13 op_sel_hi:[1,0]
	v_add_f16_sdwa v99, v43, v99 dst_sel:DWORD dst_unused:UNUSED_PAD src0_sel:WORD_1 src1_sel:DWORD
	v_add_f16_e32 v95, v104, v95
	v_fma_f16 v104, v49, s13, v103
	v_pk_fma_f16 v103, v102, s12, v51 op_sel:[0,0,1] op_sel_hi:[1,0,0]
	v_pk_fma_f16 v51, v102, s12, v51 op_sel:[0,0,1] op_sel_hi:[1,0,0] neg_lo:[0,0,1] neg_hi:[0,0,1]
	v_add_f16_e32 v99, v104, v99
	v_bfi_b32 v104, s0, v103, v51
	v_pk_add_f16 v87, v104, v87
	v_mul_f16_sdwa v104, v50, s20 dst_sel:DWORD dst_unused:UNUSED_PAD src0_sel:WORD_1 src1_sel:DWORD
	v_fma_f16 v105, v102, s17, v104
	v_add_f16_e32 v89, v105, v89
	v_mul_f16_sdwa v105, v102, s17 dst_sel:DWORD dst_unused:UNUSED_PAD src0_sel:WORD_1 src1_sel:DWORD
	v_fma_f16 v104, v102, s17, -v104
	v_add_f16_e32 v88, v104, v88
	v_fma_f16 v104, v50, s20, v105
	v_add_f16_e32 v90, v104, v90
	v_mul_f16_sdwa v104, v50, s18 dst_sel:DWORD dst_unused:UNUSED_PAD src0_sel:WORD_1 src1_sel:DWORD
	v_fma_f16 v106, v50, s19, v105
	v_fma_f16 v105, v102, s3, v104
	v_add_f16_e32 v93, v105, v93
	v_mul_f16_sdwa v105, v102, s3 dst_sel:DWORD dst_unused:UNUSED_PAD src0_sel:WORD_1 src1_sel:DWORD
	v_fma_f16 v104, v102, s3, -v104
	v_add_f16_e32 v92, v104, v92
	v_fma_f16 v104, v50, s18, v105
	v_add_f16_e32 v94, v104, v94
	v_mul_f16_sdwa v104, v50, s4 dst_sel:DWORD dst_unused:UNUSED_PAD src0_sel:WORD_1 src1_sel:DWORD
	v_add_f16_e32 v91, v106, v91
	v_fma_f16 v106, v50, s5, v105
	v_fma_f16 v105, v102, s2, v104
	v_add_f16_e32 v97, v105, v97
	v_mul_f16_sdwa v105, v102, s2 dst_sel:DWORD dst_unused:UNUSED_PAD src0_sel:WORD_1 src1_sel:DWORD
	v_fma_f16 v104, v102, s2, -v104
	v_add_f16_e32 v96, v104, v96
	v_fma_f16 v104, v50, s4, v105
	v_add_f16_e32 v98, v104, v98
	v_pk_add_f16 v104, v48, v45
	v_pk_add_f16 v45, v45, v48 neg_lo:[0,1] neg_hi:[0,1]
	s_movk_i32 s21, 0x3853
	v_pk_mul_f16 v48, v45, s15 op_sel_hi:[1,0]
	v_add_f16_e32 v95, v106, v95
	v_fma_f16 v106, v50, s21, v105
	v_pk_fma_f16 v105, v104, s14, v48 op_sel:[0,0,1] op_sel_hi:[1,0,0]
	v_pk_fma_f16 v48, v104, s14, v48 op_sel:[0,0,1] op_sel_hi:[1,0,0] neg_lo:[0,0,1] neg_hi:[0,0,1]
	v_add_f16_e32 v99, v106, v99
	v_bfi_b32 v106, s0, v105, v48
	v_pk_add_f16 v87, v106, v87
	v_mul_f16_sdwa v106, v45, s16 dst_sel:DWORD dst_unused:UNUSED_PAD src0_sel:WORD_1 src1_sel:DWORD
	v_fma_f16 v107, v104, s12, v106
	v_add_f16_e32 v89, v107, v89
	v_mul_f16_sdwa v107, v104, s12 dst_sel:DWORD dst_unused:UNUSED_PAD src0_sel:WORD_1 src1_sel:DWORD
	v_fma_f16 v106, v104, s12, -v106
	v_add_f16_e32 v88, v106, v88
	v_fma_f16 v106, v45, s16, v107
	v_add_f16_e32 v90, v106, v90
	v_mul_f16_sdwa v106, v45, s4 dst_sel:DWORD dst_unused:UNUSED_PAD src0_sel:WORD_1 src1_sel:DWORD
	v_fma_f16 v108, v45, s13, v107
	v_fma_f16 v107, v104, s2, v106
	v_add_f16_e32 v93, v107, v93
	v_mul_f16_sdwa v107, v104, s2 dst_sel:DWORD dst_unused:UNUSED_PAD src0_sel:WORD_1 src1_sel:DWORD
	v_fma_f16 v106, v104, s2, -v106
	v_add_f16_e32 v92, v106, v92
	v_fma_f16 v106, v45, s4, v107
	v_add_f16_e32 v94, v106, v94
	v_mul_f16_sdwa v106, v45, s19 dst_sel:DWORD dst_unused:UNUSED_PAD src0_sel:WORD_1 src1_sel:DWORD
	v_add_f16_e32 v91, v108, v91
	v_fma_f16 v108, v45, s21, v107
	v_fma_f16 v107, v104, s17, v106
	v_add_f16_e32 v97, v107, v97
	v_mul_f16_sdwa v107, v104, s17 dst_sel:DWORD dst_unused:UNUSED_PAD src0_sel:WORD_1 src1_sel:DWORD
	v_fma_f16 v106, v104, s17, -v106
	v_add_f16_e32 v96, v106, v96
	v_fma_f16 v106, v45, s19, v107
	v_add_f16_e32 v98, v106, v98
	v_pk_add_f16 v106, v47, v46
	v_pk_add_f16 v46, v46, v47 neg_lo:[0,1] neg_hi:[0,1]
	v_pk_mul_f16 v47, v46, s19 op_sel_hi:[1,0]
	v_add_f16_e32 v95, v108, v95
	v_fma_f16 v108, v45, s20, v107
	v_pk_fma_f16 v107, v106, s17, v47 op_sel:[0,0,1] op_sel_hi:[1,0,0]
	v_pk_fma_f16 v47, v106, s17, v47 op_sel:[0,0,1] op_sel_hi:[1,0,0] neg_lo:[0,0,1] neg_hi:[0,0,1]
	v_add_f16_e32 v99, v108, v99
	v_bfi_b32 v108, s0, v107, v47
	v_pk_add_f16 v87, v108, v87
	v_mul_f16_sdwa v108, v46, s21 dst_sel:DWORD dst_unused:UNUSED_PAD src0_sel:WORD_1 src1_sel:DWORD
	v_fma_f16 v109, v106, s2, v108
	v_add_f16_e32 v89, v109, v89
	v_mul_f16_sdwa v109, v106, s2 dst_sel:DWORD dst_unused:UNUSED_PAD src0_sel:WORD_1 src1_sel:DWORD
	v_fma_f16 v108, v106, s2, -v108
	v_add_f16_e32 v88, v108, v88
	v_fma_f16 v108, v46, s21, v109
	v_add_f16_e32 v90, v108, v90
	v_mul_f16_sdwa v108, v46, s15 dst_sel:DWORD dst_unused:UNUSED_PAD src0_sel:WORD_1 src1_sel:DWORD
	v_fma_f16 v110, v46, s4, v109
	v_fma_f16 v109, v106, s14, v108
	v_add_f16_e32 v93, v109, v93
	v_mul_f16_sdwa v109, v106, s14 dst_sel:DWORD dst_unused:UNUSED_PAD src0_sel:WORD_1 src1_sel:DWORD
	v_fma_f16 v108, v106, s14, -v108
	v_add_f16_e32 v92, v108, v92
	v_fma_f16 v108, v46, s15, v109
	v_add_f16_e32 v94, v108, v94
	v_mul_f16_sdwa v108, v46, s18 dst_sel:DWORD dst_unused:UNUSED_PAD src0_sel:WORD_1 src1_sel:DWORD
	v_add_f16_e32 v91, v110, v91
	v_fma_f16 v110, v46, s22, v109
	v_fma_f16 v109, v106, s3, v108
	v_add_f16_e32 v97, v109, v97
	v_mul_f16_sdwa v109, v106, s3 dst_sel:DWORD dst_unused:UNUSED_PAD src0_sel:WORD_1 src1_sel:DWORD
	v_add_f16_e32 v95, v110, v95
	v_fma_f16 v110, v46, s5, v109
	s_waitcnt lgkmcnt(0)
	; wave barrier
	v_add_f16_e32 v99, v110, v99
	ds_write2_b32 v66, v84, v87 offset1:1
	v_pack_b32_f16 v84, v93, v95
	v_pack_b32_f16 v87, v89, v91
	ds_write2_b32 v66, v87, v84 offset0:2 offset1:3
	v_pack_b32_f16 v84, v97, v99
	ds_write_b32 v66, v84 offset:16
	v_pk_mul_f16 v84, v85, s17 op_sel_hi:[1,0]
	v_pk_fma_f16 v85, v44, s19, v84 op_sel:[0,0,1] op_sel_hi:[1,0,0]
	v_pk_fma_f16 v44, v44, s19, v84 op_sel:[0,0,1] op_sel_hi:[1,0,0] neg_lo:[1,0,0] neg_hi:[1,0,0]
	v_alignbit_b32 v84, s0, v43, 16
	v_alignbit_b32 v87, s0, v85, 16
	v_pk_add_f16 v84, v84, v85
	v_pk_mul_f16 v85, v100, s2 op_sel_hi:[1,0]
	v_pk_add_f16 v44, v43, v44 op_sel:[1,0] op_sel_hi:[0,1]
	v_pk_fma_f16 v89, v49, s21, v85 op_sel:[0,0,1] op_sel_hi:[1,0,0]
	v_pk_fma_f16 v49, v49, s21, v85 op_sel:[0,0,1] op_sel_hi:[1,0,0] neg_lo:[1,0,0] neg_hi:[1,0,0]
	v_pk_add_f16 v44, v49, v44
	v_pk_add_f16 v49, v89, v84
	v_pk_mul_f16 v84, v102, s14 op_sel_hi:[1,0]
	v_pk_fma_f16 v85, v50, s15, v84 op_sel:[0,0,1] op_sel_hi:[1,0,0]
	v_pk_fma_f16 v50, v50, s15, v84 op_sel:[0,0,1] op_sel_hi:[1,0,0] neg_lo:[1,0,0] neg_hi:[1,0,0]
	v_pk_add_f16 v44, v50, v44
	v_pk_mul_f16 v50, v104, s3 op_sel_hi:[1,0]
	v_pk_add_f16 v87, v43, v87
	v_alignbit_b32 v91, s0, v89, 16
	v_pk_add_f16 v49, v85, v49
	v_pk_fma_f16 v84, v45, s18, v50 op_sel:[0,0,1] op_sel_hi:[1,0,0]
	v_pk_fma_f16 v45, v45, s18, v50 op_sel:[0,0,1] op_sel_hi:[1,0,0] neg_lo:[1,0,0] neg_hi:[1,0,0]
	v_pk_add_f16 v87, v91, v87
	v_alignbit_b32 v89, s0, v85, 16
	v_pk_add_f16 v44, v45, v44
	v_pk_add_f16 v45, v84, v49
	v_pk_mul_f16 v49, v106, s12 op_sel_hi:[1,0]
	v_fma_f16 v108, v106, s3, -v108
	v_pk_add_f16 v87, v89, v87
	v_alignbit_b32 v85, s0, v84, 16
	v_pk_fma_f16 v50, v46, s13, v49 op_sel:[0,0,1] op_sel_hi:[1,0,0]
	v_add_f16_e32 v96, v108, v96
	v_fma_f16 v108, v46, s18, v109
	v_pk_add_f16 v85, v85, v87
	v_alignbit_b32 v84, s0, v50, 16
	v_pk_fma_f16 v46, v46, s13, v49 op_sel:[0,0,1] op_sel_hi:[1,0,0] neg_lo:[1,0,0] neg_hi:[1,0,0]
	v_pk_add_f16 v84, v84, v85
	v_pk_add_f16 v44, v46, v44
	;; [unrolled: 1-line block ×3, first 2 shown]
	v_add_f16_e32 v98, v108, v98
	v_alignbit_b32 v45, v45, v44, 16
	v_pack_b32_f16 v44, v84, v44
	ds_write2_b32 v66, v44, v45 offset0:5 offset1:6
	v_pack_b32_f16 v44, v92, v94
	v_pack_b32_f16 v45, v96, v98
	ds_write2_b32 v66, v45, v44 offset0:7 offset1:8
	v_bfi_b32 v44, s0, v83, v86
	v_pk_add_f16 v43, v43, v44
	v_bfi_b32 v44, s0, v52, v101
	v_pk_add_f16 v43, v44, v43
	;; [unrolled: 2-line block ×5, first 2 shown]
	v_pack_b32_f16 v44, v88, v90
	ds_write2_b32 v66, v44, v43 offset0:9 offset1:10
	s_and_saveexec_b64 s[0:1], vcc
	s_cbranch_execz .LBB0_13
; %bb.12:
	v_add_f16_sdwa v43, v26, v80 dst_sel:DWORD dst_unused:UNUSED_PAD src0_sel:WORD_1 src1_sel:DWORD
	v_mul_f16_e32 v44, 0xbbad, v43
	v_sub_f16_e32 v45, v40, v70
	v_add_f16_e32 v47, v69, v81
	v_fma_f16 v46, v45, s20, v44
	v_mul_f16_e32 v48, 0x3abb, v47
	v_sub_f16_e32 v49, v41, v24
	v_add_f16_e32 v46, v79, v46
	v_fma_f16 v50, v49, s4, v48
	v_add_f16_e32 v46, v50, v46
	v_add_f16_e32 v50, v71, v82
	v_mul_f16_e32 v51, 0xb93d, v50
	v_sub_f16_e32 v52, v42, v23
	v_fma_f16 v66, v52, s22, v51
	v_add_f16_e32 v46, v66, v46
	v_add_f16_e32 v66, v72, v68
	v_mul_f16_e32 v83, 0x36a6, v66
	v_sub_f16_e32 v84, v25, v28
	;; [unrolled: 5-line block ×3, first 2 shown]
	v_fma_f16 v88, v87, s16, v86
	v_sub_f16_sdwa v89, v80, v26 dst_sel:DWORD dst_unused:UNUSED_PAD src0_sel:DWORD src1_sel:WORD_1
	v_add_f16_e32 v46, v88, v46
	v_add_f16_e32 v88, v70, v40
	v_mul_f16_e32 v90, 0xb482, v89
	v_sub_f16_e32 v93, v81, v69
	v_fma_f16 v91, v88, s17, v90
	v_add_f16_e32 v92, v24, v41
	v_mul_f16_e32 v94, 0x3853, v93
	v_add_f16_e32 v91, v39, v91
	v_fma_f16 v95, v92, s2, v94
	v_sub_f16_e32 v96, v82, v71
	v_add_f16_e32 v91, v95, v91
	v_add_f16_e32 v95, v23, v42
	v_mul_f16_e32 v97, 0xba0c, v96
	v_fma_f16 v98, v95, s14, v97
	v_sub_f16_e32 v99, v68, v72
	v_add_f16_e32 v91, v98, v91
	v_add_f16_e32 v98, v28, v25
	v_mul_f16_e32 v100, 0x3b47, v99
	;; [unrolled: 5-line block ×3, first 2 shown]
	v_fma_f16 v104, v101, s12, v103
	v_add_f16_e32 v91, v104, v91
	v_mul_f16_e32 v104, 0xb93d, v43
	v_fma_f16 v105, v45, s22, v104
	v_mul_f16_e32 v106, 0xb08e, v47
	v_add_f16_e32 v105, v79, v105
	v_fma_f16 v107, v49, s13, v106
	v_add_f16_e32 v105, v107, v105
	v_mul_f16_e32 v107, 0x3abb, v50
	v_fma_f16 v108, v52, s21, v107
	v_add_f16_e32 v105, v108, v105
	v_mul_f16_e32 v108, 0xbbad, v66
	;; [unrolled: 3-line block ×4, first 2 shown]
	v_add_f16_e32 v40, v40, v39
	v_fma_f16 v111, v88, s14, v110
	v_mul_f16_e32 v112, 0x3beb, v93
	v_add_f16_e32 v40, v41, v40
	v_add_f16_e32 v111, v39, v111
	v_fma_f16 v113, v92, s12, v112
	v_add_f16_e32 v40, v42, v40
	v_add_f16_e32 v111, v113, v111
	v_mul_f16_e32 v113, 0xb853, v96
	v_add_f16_e32 v25, v25, v40
	v_fma_f16 v114, v95, s2, v113
	v_add_f16_e32 v25, v26, v25
	v_add_f16_e32 v111, v114, v111
	v_mul_f16_e32 v114, 0xb482, v99
	;; [unrolled: 5-line block ×3, first 2 shown]
	v_add_f16_e32 v23, v23, v25
	v_fma_f16 v116, v101, s3, v115
	v_add_f16_e32 v23, v24, v23
	v_add_f16_e32 v24, v80, v79
	;; [unrolled: 1-line block ×3, first 2 shown]
	v_mul_f16_e32 v116, 0xb08e, v43
	v_add_f16_e32 v24, v81, v24
	v_fma_f16 v117, v45, s16, v116
	v_mul_f16_e32 v118, 0xbbad, v47
	v_add_f16_e32 v24, v82, v24
	v_add_f16_e32 v117, v79, v117
	v_fma_f16 v119, v49, s19, v118
	v_add_f16_e32 v24, v68, v24
	v_add_f16_e32 v117, v119, v117
	v_mul_f16_e32 v119, 0x36a6, v50
	v_add_f16_e32 v24, v73, v24
	v_fma_f16 v120, v52, s5, v119
	v_add_f16_e32 v24, v74, v24
	v_add_f16_e32 v117, v120, v117
	v_mul_f16_e32 v120, 0x3abb, v66
	;; [unrolled: 5-line block ×3, first 2 shown]
	v_add_f16_e32 v24, v69, v24
	v_fma_f16 v25, v45, s19, v44
	v_fma_f16 v122, v87, s22, v121
	v_add_f16_sdwa v24, v26, v24 dst_sel:DWORD dst_unused:UNUSED_PAD src0_sel:WORD_1 src1_sel:DWORD
	v_add_f16_e32 v25, v79, v25
	v_fma_f16 v26, v49, s21, v48
	v_add_f16_e32 v117, v122, v117
	v_mul_f16_e32 v122, 0xbbeb, v89
	v_add_f16_e32 v25, v26, v25
	v_fma_f16 v26, v52, s15, v51
	v_fma_f16 v123, v88, s12, v122
	v_mul_f16_e32 v124, 0x3482, v93
	v_add_f16_e32 v25, v26, v25
	v_fma_f16 v26, v84, s18, v83
	v_add_f16_e32 v123, v39, v123
	v_fma_f16 v125, v92, s17, v124
	;; [unrolled: 2-line block ×3, first 2 shown]
	v_add_f16_e32 v123, v125, v123
	v_mul_f16_e32 v125, 0x3b47, v96
	v_add_f16_e32 v25, v26, v25
	v_fma_f16 v26, v88, s17, -v90
	v_fma_f16 v126, v95, s3, v125
	v_add_f16_e32 v26, v39, v26
	v_fma_f16 v27, v92, s2, -v94
	v_add_f16_e32 v123, v126, v123
	v_mul_f16_e32 v126, 0xb853, v99
	v_add_f16_e32 v26, v27, v26
	v_fma_f16 v27, v95, s14, -v97
	v_fma_f16 v127, v98, s2, v126
	v_add_f16_e32 v26, v27, v26
	v_fma_f16 v27, v98, s3, -v100
	v_add_f16_e32 v123, v127, v123
	v_mul_f16_e32 v127, 0xba0c, v102
	v_add_f16_e32 v26, v27, v26
	v_fma_f16 v27, v101, s12, -v103
	v_fma_f16 v128, v101, s14, v127
	v_add_f16_e32 v26, v27, v26
	v_fma_f16 v27, v45, s15, v104
	v_add_f16_e32 v123, v128, v123
	v_mul_f16_e32 v128, 0x36a6, v43
	v_add_f16_e32 v27, v79, v27
	v_fma_f16 v28, v49, s16, v106
	v_fma_f16 v129, v45, s18, v128
	v_mul_f16_e32 v130, 0xb93d, v47
	v_add_f16_e32 v27, v28, v27
	v_fma_f16 v28, v52, s4, v107
	v_add_f16_e32 v129, v79, v129
	v_fma_f16 v131, v49, s22, v130
	;; [unrolled: 2-line block ×3, first 2 shown]
	v_add_f16_e32 v129, v131, v129
	v_mul_f16_e32 v131, 0xbbad, v50
	v_add_f16_e32 v27, v28, v27
	v_fma_f16 v28, v87, s18, v109
	v_fma_f16 v132, v52, s19, v131
	v_add_f16_e32 v27, v28, v27
	v_fma_f16 v28, v88, s14, -v110
	v_add_f16_e32 v129, v132, v129
	v_mul_f16_e32 v132, 0xb08e, v66
	v_add_f16_e32 v28, v39, v28
	v_fma_f16 v40, v92, s12, -v112
	v_fma_f16 v133, v84, s13, v132
	v_add_f16_e32 v28, v40, v28
	v_fma_f16 v40, v95, s2, -v113
	v_add_f16_e32 v129, v133, v129
	v_mul_f16_e32 v133, 0x3abb, v85
	v_add_f16_e32 v28, v40, v28
	v_fma_f16 v40, v98, s17, -v114
	v_fma_f16 v134, v87, s4, v133
	v_add_f16_e32 v28, v40, v28
	v_fma_f16 v40, v101, s3, -v115
	v_add_f16_e32 v129, v134, v129
	v_mul_f16_e32 v134, 0xbb47, v89
	v_add_f16_e32 v28, v40, v28
	v_fma_f16 v40, v45, s13, v116
	v_fma_f16 v135, v88, s3, v134
	v_mul_f16_e32 v136, 0xba0c, v93
	v_add_f16_e32 v40, v79, v40
	v_fma_f16 v41, v49, s20, v118
	v_add_f16_e32 v135, v39, v135
	v_fma_f16 v137, v92, s14, v136
	;; [unrolled: 2-line block ×3, first 2 shown]
	v_add_f16_e32 v135, v137, v135
	v_mul_f16_e32 v137, 0x3482, v96
	v_add_f16_e32 v40, v41, v40
	v_fma_f16 v41, v84, s4, v120
	v_fma_f16 v138, v95, s17, v137
	v_add_f16_e32 v40, v41, v40
	v_fma_f16 v41, v87, s15, v121
	v_add_f16_e32 v135, v138, v135
	v_mul_f16_e32 v138, 0x3beb, v99
	v_add_f16_e32 v40, v41, v40
	v_fma_f16 v41, v88, s12, -v122
	v_fma_f16 v139, v98, s12, v138
	v_add_f16_e32 v41, v39, v41
	v_fma_f16 v42, v92, s17, -v124
	v_add_f16_e32 v135, v139, v135
	v_mul_f16_e32 v139, 0x3853, v102
	v_add_f16_e32 v41, v42, v41
	v_fma_f16 v42, v95, s3, -v125
	v_fma_f16 v140, v101, s2, v139
	v_mul_f16_e32 v43, 0x3abb, v43
	v_add_f16_e32 v41, v42, v41
	v_fma_f16 v42, v98, s2, -v126
	v_add_f16_e32 v135, v140, v135
	v_fma_f16 v140, v45, s21, v43
	v_mul_f16_e32 v47, 0x36a6, v47
	v_add_f16_e32 v41, v42, v41
	v_fma_f16 v42, v101, s14, -v127
	v_add_f16_e32 v140, v79, v140
	v_fma_f16 v141, v49, s18, v47
	v_mul_f16_e32 v50, 0xb08e, v50
	v_add_f16_e32 v41, v42, v41
	v_fma_f16 v42, v45, s5, v128
	v_fma_f16 v43, v45, s4, v43
	v_add_f16_e32 v140, v141, v140
	v_fma_f16 v141, v52, s16, v50
	v_mul_f16_e32 v66, 0xb93d, v66
	v_add_f16_e32 v42, v79, v42
	v_fma_f16 v44, v49, s15, v130
	v_add_f16_e32 v43, v79, v43
	v_fma_f16 v45, v49, s5, v47
	v_add_f16_e32 v140, v141, v140
	v_fma_f16 v141, v84, s22, v66
	v_mul_f16_e32 v85, 0xbbad, v85
	v_add_f16_e32 v42, v44, v42
	v_fma_f16 v44, v52, s20, v131
	v_add_f16_e32 v43, v45, v43
	;; [unrolled: 7-line block ×4, first 2 shown]
	v_fma_f16 v45, v87, s19, v85
	v_add_f16_e32 v141, v39, v141
	v_fma_f16 v142, v92, s3, v93
	v_mul_f16_e32 v96, 0xbbeb, v96
	v_add_f16_e32 v42, v44, v42
	v_fma_f16 v44, v88, s3, -v134
	v_add_f16_e32 v43, v45, v43
	v_fma_f16 v45, v88, s2, -v89
	v_add_f16_e32 v141, v142, v141
	v_fma_f16 v142, v95, s12, v96
	v_mul_f16_e32 v99, 0xba0c, v99
	v_add_f16_e32 v44, v39, v44
	v_add_f16_e32 v39, v39, v45
	v_fma_f16 v45, v92, s3, -v93
	v_add_f16_e32 v141, v142, v141
	v_fma_f16 v142, v98, s14, v99
	v_mul_f16_e32 v102, 0xb482, v102
	v_add_f16_e32 v39, v45, v39
	v_fma_f16 v45, v95, s12, -v96
	v_add_f16_e32 v141, v142, v141
	v_fma_f16 v142, v101, s17, v102
	v_add_f16_e32 v39, v45, v39
	v_fma_f16 v45, v98, s14, -v99
	v_add_f16_e32 v141, v142, v141
	v_add_f16_e32 v23, v70, v23
	v_fma_f16 v48, v92, s14, -v136
	v_add_f16_e32 v39, v45, v39
	v_fma_f16 v45, v101, s17, -v102
	;; [unrolled: 2-line block ×3, first 2 shown]
	v_add_f16_e32 v39, v45, v39
	v_lshlrev_b32_e32 v45, 2, v67
	v_pack_b32_f16 v47, v141, v140
	v_pack_b32_f16 v23, v23, v24
	v_add_f16_e32 v44, v48, v44
	v_fma_f16 v48, v98, s12, -v138
	ds_write2_b32 v45, v23, v47 offset1:1
	v_pack_b32_f16 v23, v123, v117
	v_pack_b32_f16 v24, v135, v129
	v_add_f16_e32 v44, v48, v44
	v_fma_f16 v48, v101, s2, -v139
	ds_write2_b32 v45, v24, v23 offset0:2 offset1:3
	v_pack_b32_f16 v23, v91, v46
	v_pack_b32_f16 v24, v111, v105
	v_add_f16_e32 v44, v48, v44
	ds_write2_b32 v45, v24, v23 offset0:4 offset1:5
	v_pack_b32_f16 v23, v28, v27
	v_pack_b32_f16 v24, v26, v25
	ds_write2_b32 v45, v24, v23 offset0:6 offset1:7
	v_pack_b32_f16 v23, v44, v42
	v_pack_b32_f16 v24, v41, v40
	ds_write2_b32 v45, v24, v23 offset0:8 offset1:9
	v_pack_b32_f16 v23, v39, v43
	ds_write_b32 v45, v23 offset:40
.LBB0_13:
	s_or_b64 exec, exec, s[0:1]
	s_waitcnt lgkmcnt(0)
	; wave barrier
	s_waitcnt lgkmcnt(0)
	ds_read2_b32 v[26:27], v53 offset1:55
	ds_read2_b32 v[39:40], v53 offset0:110 offset1:165
	v_add_u32_e32 v24, 0x400, v53
	ds_read2_b32 v[41:42], v24 offset0:74 offset1:129
	ds_read2_b32 v[43:44], v24 offset0:184 offset1:239
	v_add_u32_e32 v23, 0x800, v53
	s_waitcnt lgkmcnt(2)
	v_lshrrev_b32_e32 v51, 16, v40
	ds_read2_b32 v[45:46], v23 offset0:148 offset1:203
	v_mul_f16_sdwa v83, v4, v51 dst_sel:DWORD dst_unused:UNUSED_PAD src0_sel:WORD_1 src1_sel:DWORD
	s_waitcnt lgkmcnt(2)
	v_lshrrev_b32_e32 v52, 16, v41
	v_add_u32_e32 v25, 0x200, v53
	v_fma_f16 v83, v4, v40, v83
	v_mul_f16_sdwa v40, v4, v40 dst_sel:DWORD dst_unused:UNUSED_PAD src0_sel:WORD_1 src1_sel:DWORD
	ds_read2_b32 v[47:48], v25 offset0:92 offset1:147
	v_fma_f16 v4, v4, v51, -v40
	v_mul_f16_sdwa v40, v5, v52 dst_sel:DWORD dst_unused:UNUSED_PAD src0_sel:WORD_1 src1_sel:DWORD
	s_waitcnt lgkmcnt(2)
	v_lshrrev_b32_e32 v66, 16, v44
	v_fma_f16 v40, v5, v41, v40
	v_mul_f16_sdwa v41, v5, v41 dst_sel:DWORD dst_unused:UNUSED_PAD src0_sel:WORD_1 src1_sel:DWORD
	v_fma_f16 v5, v5, v52, -v41
	v_mul_f16_sdwa v41, v6, v66 dst_sel:DWORD dst_unused:UNUSED_PAD src0_sel:WORD_1 src1_sel:DWORD
	s_waitcnt lgkmcnt(1)
	v_lshrrev_b32_e32 v67, 16, v45
	v_fma_f16 v41, v6, v44, v41
	v_mul_f16_sdwa v44, v6, v44 dst_sel:DWORD dst_unused:UNUSED_PAD src0_sel:WORD_1 src1_sel:DWORD
	ds_read2_b32 v[49:50], v23 offset0:38 offset1:93
	v_fma_f16 v6, v6, v66, -v44
	v_mul_f16_sdwa v44, v7, v67 dst_sel:DWORD dst_unused:UNUSED_PAD src0_sel:WORD_1 src1_sel:DWORD
	s_waitcnt lgkmcnt(1)
	v_lshrrev_b32_e32 v69, 16, v47
	v_fma_f16 v44, v7, v45, v44
	v_mul_f16_sdwa v45, v7, v45 dst_sel:DWORD dst_unused:UNUSED_PAD src0_sel:WORD_1 src1_sel:DWORD
	v_fma_f16 v7, v7, v67, -v45
	v_mul_f16_sdwa v45, v0, v69 dst_sel:DWORD dst_unused:UNUSED_PAD src0_sel:WORD_1 src1_sel:DWORD
	v_lshrrev_b32_e32 v70, 16, v42
	v_fma_f16 v45, v0, v47, v45
	v_mul_f16_sdwa v47, v0, v47 dst_sel:DWORD dst_unused:UNUSED_PAD src0_sel:WORD_1 src1_sel:DWORD
	v_fma_f16 v0, v0, v69, -v47
	v_mul_f16_sdwa v47, v1, v70 dst_sel:DWORD dst_unused:UNUSED_PAD src0_sel:WORD_1 src1_sel:DWORD
	s_waitcnt lgkmcnt(0)
	v_lshrrev_b32_e32 v71, 16, v49
	v_fma_f16 v47, v1, v42, v47
	v_mul_f16_sdwa v42, v1, v42 dst_sel:DWORD dst_unused:UNUSED_PAD src0_sel:WORD_1 src1_sel:DWORD
	v_fma_f16 v1, v1, v70, -v42
	v_mul_f16_sdwa v42, v2, v71 dst_sel:DWORD dst_unused:UNUSED_PAD src0_sel:WORD_1 src1_sel:DWORD
	v_lshrrev_b32_e32 v72, 16, v46
	v_fma_f16 v42, v2, v49, v42
	v_mul_f16_sdwa v49, v2, v49 dst_sel:DWORD dst_unused:UNUSED_PAD src0_sel:WORD_1 src1_sel:DWORD
	v_fma_f16 v2, v2, v71, -v49
	v_mul_f16_sdwa v49, v3, v72 dst_sel:DWORD dst_unused:UNUSED_PAD src0_sel:WORD_1 src1_sel:DWORD
	v_lshrrev_b32_e32 v79, 16, v48
	v_fma_f16 v49, v3, v46, v49
	v_mul_f16_sdwa v46, v3, v46 dst_sel:DWORD dst_unused:UNUSED_PAD src0_sel:WORD_1 src1_sel:DWORD
	ds_read_b32 v73, v53 offset:3080
	v_fma_f16 v3, v3, v72, -v46
	v_mul_f16_sdwa v46, v8, v79 dst_sel:DWORD dst_unused:UNUSED_PAD src0_sel:WORD_1 src1_sel:DWORD
	v_lshrrev_b32_e32 v80, 16, v43
	v_fma_f16 v46, v8, v48, v46
	v_mul_f16_sdwa v48, v8, v48 dst_sel:DWORD dst_unused:UNUSED_PAD src0_sel:WORD_1 src1_sel:DWORD
	v_fma_f16 v8, v8, v79, -v48
	v_mul_f16_sdwa v48, v9, v80 dst_sel:DWORD dst_unused:UNUSED_PAD src0_sel:WORD_1 src1_sel:DWORD
	v_lshrrev_b32_e32 v81, 16, v50
	v_fma_f16 v48, v9, v43, v48
	v_mul_f16_sdwa v43, v9, v43 dst_sel:DWORD dst_unused:UNUSED_PAD src0_sel:WORD_1 src1_sel:DWORD
	v_add_f16_e32 v52, v40, v41
	v_fma_f16 v9, v9, v80, -v43
	v_mul_f16_sdwa v43, v10, v81 dst_sel:DWORD dst_unused:UNUSED_PAD src0_sel:WORD_1 src1_sel:DWORD
	v_fma_f16 v52, v52, -0.5, v26
	v_sub_f16_e32 v66, v4, v7
	s_mov_b32 s1, 0xbb9c
	s_movk_i32 s3, 0x3b9c
	s_waitcnt lgkmcnt(0)
	v_lshrrev_b32_e32 v82, 16, v73
	v_fma_f16 v43, v10, v50, v43
	v_mul_f16_sdwa v50, v10, v50 dst_sel:DWORD dst_unused:UNUSED_PAD src0_sel:WORD_1 src1_sel:DWORD
	v_fma_f16 v67, v66, s1, v52
	v_sub_f16_e32 v69, v5, v6
	s_mov_b32 s0, 0xb8b4
	v_sub_f16_e32 v70, v83, v40
	v_sub_f16_e32 v71, v44, v41
	v_fma_f16 v52, v66, s3, v52
	s_movk_i32 s4, 0x38b4
	v_fma_f16 v10, v10, v81, -v50
	v_mul_f16_sdwa v50, v11, v82 dst_sel:DWORD dst_unused:UNUSED_PAD src0_sel:WORD_1 src1_sel:DWORD
	v_mul_f16_sdwa v51, v11, v73 dst_sel:DWORD dst_unused:UNUSED_PAD src0_sel:WORD_1 src1_sel:DWORD
	v_fma_f16 v67, v69, s0, v67
	v_add_f16_e32 v70, v70, v71
	s_movk_i32 s2, 0x34f2
	v_fma_f16 v52, v69, s4, v52
	v_fma_f16 v50, v11, v73, v50
	v_fma_f16 v11, v11, v82, -v51
	v_add_f16_e32 v51, v26, v83
	v_fma_f16 v67, v70, s2, v67
	v_fma_f16 v52, v70, s2, v52
	v_add_f16_e32 v70, v83, v44
	v_lshrrev_b32_e32 v28, 16, v26
	v_add_f16_e32 v51, v51, v40
	v_fma_f16 v26, v70, -0.5, v26
	v_add_f16_e32 v51, v51, v41
	v_fma_f16 v70, v69, s3, v26
	v_sub_f16_e32 v71, v40, v83
	v_sub_f16_e32 v72, v41, v44
	v_fma_f16 v26, v69, s1, v26
	v_add_f16_e32 v69, v5, v6
	v_add_f16_e32 v51, v51, v44
	v_fma_f16 v70, v66, s0, v70
	v_add_f16_e32 v71, v71, v72
	v_fma_f16 v26, v66, s4, v26
	v_fma_f16 v69, v69, -0.5, v28
	v_sub_f16_e32 v44, v83, v44
	v_fma_f16 v70, v71, s2, v70
	v_fma_f16 v26, v71, s2, v26
	;; [unrolled: 1-line block ×3, first 2 shown]
	v_sub_f16_e32 v40, v40, v41
	v_fma_f16 v41, v40, s4, v71
	v_sub_f16_e32 v71, v4, v5
	v_sub_f16_e32 v72, v7, v6
	v_fma_f16 v69, v44, s1, v69
	v_add_f16_e32 v66, v28, v4
	v_add_f16_e32 v71, v71, v72
	v_fma_f16 v69, v40, s0, v69
	v_add_f16_e32 v66, v66, v5
	v_fma_f16 v41, v71, s2, v41
	v_fma_f16 v69, v71, s2, v69
	v_add_f16_e32 v71, v4, v7
	v_add_f16_e32 v66, v66, v6
	v_fma_f16 v28, v71, -0.5, v28
	v_add_f16_e32 v66, v66, v7
	v_fma_f16 v71, v40, s1, v28
	v_sub_f16_e32 v4, v5, v4
	v_sub_f16_e32 v5, v6, v7
	v_add_f16_e32 v7, v47, v42
	v_fma_f16 v71, v44, s4, v71
	v_add_f16_e32 v4, v4, v5
	v_fma_f16 v6, v40, s3, v28
	v_fma_f16 v7, v7, -0.5, v27
	v_sub_f16_e32 v28, v0, v3
	v_fma_f16 v5, v4, s2, v71
	v_fma_f16 v6, v44, s0, v6
	;; [unrolled: 1-line block ×3, first 2 shown]
	v_sub_f16_e32 v44, v1, v2
	v_sub_f16_e32 v71, v45, v47
	v_sub_f16_e32 v72, v49, v42
	v_fma_f16 v7, v28, s3, v7
	v_fma_f16 v40, v44, s0, v40
	v_add_f16_e32 v71, v71, v72
	v_fma_f16 v7, v44, s4, v7
	v_fma_f16 v40, v71, s2, v40
	;; [unrolled: 1-line block ×3, first 2 shown]
	v_add_f16_e32 v71, v45, v49
	v_lshrrev_b32_e32 v68, 16, v27
	v_fma_f16 v4, v4, s2, v6
	v_add_f16_e32 v6, v27, v45
	v_fma_f16 v27, v71, -0.5, v27
	v_add_f16_e32 v6, v6, v47
	v_fma_f16 v71, v44, s3, v27
	v_fma_f16 v27, v44, s1, v27
	v_add_f16_e32 v44, v1, v2
	v_add_f16_e32 v6, v6, v42
	v_sub_f16_e32 v72, v47, v45
	v_sub_f16_e32 v73, v42, v49
	v_fma_f16 v44, v44, -0.5, v68
	v_sub_f16_e32 v45, v45, v49
	v_add_f16_e32 v6, v6, v49
	v_fma_f16 v71, v28, s0, v71
	v_add_f16_e32 v72, v72, v73
	v_fma_f16 v27, v28, s4, v27
	v_fma_f16 v49, v45, s3, v44
	v_sub_f16_e32 v42, v47, v42
	v_fma_f16 v71, v72, s2, v71
	v_fma_f16 v27, v72, s2, v27
	;; [unrolled: 1-line block ×3, first 2 shown]
	v_sub_f16_e32 v49, v0, v1
	v_sub_f16_e32 v72, v3, v2
	v_fma_f16 v44, v45, s1, v44
	v_add_f16_e32 v28, v68, v0
	v_add_f16_e32 v49, v49, v72
	v_fma_f16 v44, v42, s0, v44
	v_add_f16_e32 v28, v28, v1
	v_fma_f16 v47, v49, s2, v47
	v_fma_f16 v44, v49, s2, v44
	v_add_f16_e32 v49, v0, v3
	v_add_f16_e32 v28, v28, v2
	v_fma_f16 v49, v49, -0.5, v68
	v_add_f16_e32 v28, v28, v3
	v_fma_f16 v68, v42, s1, v49
	v_sub_f16_e32 v0, v1, v0
	v_sub_f16_e32 v1, v2, v3
	v_add_f16_e32 v3, v48, v43
	v_fma_f16 v68, v45, s4, v68
	v_add_f16_e32 v0, v0, v1
	v_fma_f16 v2, v42, s3, v49
	v_fma_f16 v3, v3, -0.5, v39
	v_sub_f16_e32 v42, v8, v11
	v_fma_f16 v1, v0, s2, v68
	v_fma_f16 v2, v45, s0, v2
	;; [unrolled: 1-line block ×3, first 2 shown]
	v_sub_f16_e32 v49, v9, v10
	v_sub_f16_e32 v68, v46, v48
	v_sub_f16_e32 v72, v50, v43
	v_fma_f16 v3, v42, s3, v3
	v_fma_f16 v45, v49, s0, v45
	v_add_f16_e32 v68, v68, v72
	v_fma_f16 v3, v49, s4, v3
	v_fma_f16 v45, v68, s2, v45
	;; [unrolled: 1-line block ×3, first 2 shown]
	v_add_f16_e32 v68, v46, v50
	v_lshrrev_b32_e32 v74, 16, v39
	v_fma_f16 v0, v0, s2, v2
	v_add_f16_e32 v2, v39, v46
	v_fma_f16 v39, v68, -0.5, v39
	v_add_f16_e32 v2, v2, v48
	v_fma_f16 v68, v49, s3, v39
	v_fma_f16 v39, v49, s1, v39
	v_add_f16_e32 v49, v9, v10
	v_add_f16_e32 v2, v2, v43
	v_sub_f16_e32 v72, v48, v46
	v_sub_f16_e32 v73, v43, v50
	v_fma_f16 v49, v49, -0.5, v74
	v_sub_f16_e32 v46, v46, v50
	v_add_f16_e32 v2, v2, v50
	v_fma_f16 v68, v42, s0, v68
	v_add_f16_e32 v72, v72, v73
	v_fma_f16 v39, v42, s4, v39
	v_fma_f16 v50, v46, s3, v49
	v_sub_f16_e32 v43, v48, v43
	v_fma_f16 v68, v72, s2, v68
	v_fma_f16 v39, v72, s2, v39
	;; [unrolled: 1-line block ×3, first 2 shown]
	v_sub_f16_e32 v50, v8, v9
	v_sub_f16_e32 v72, v11, v10
	v_fma_f16 v49, v46, s1, v49
	v_add_f16_e32 v50, v50, v72
	v_fma_f16 v49, v43, s0, v49
	v_add_f16_e32 v42, v74, v8
	v_fma_f16 v48, v50, s2, v48
	v_fma_f16 v49, v50, s2, v49
	v_add_f16_e32 v50, v8, v11
	v_add_f16_e32 v42, v42, v9
	v_fma_f16 v50, v50, -0.5, v74
	v_add_f16_e32 v42, v42, v10
	v_fma_f16 v72, v43, s1, v50
	v_sub_f16_e32 v8, v9, v8
	v_sub_f16_e32 v9, v10, v11
	v_fma_f16 v10, v43, s3, v50
	v_fma_f16 v72, v46, s4, v72
	v_add_f16_e32 v8, v8, v9
	v_fma_f16 v10, v46, s0, v10
	v_pack_b32_f16 v5, v70, v5
	v_pack_b32_f16 v4, v26, v4
	v_add_f16_e32 v42, v42, v11
	v_fma_f16 v9, v8, s2, v72
	v_fma_f16 v8, v8, s2, v10
	s_waitcnt lgkmcnt(0)
	; wave barrier
	v_pack_b32_f16 v10, v51, v66
	v_pack_b32_f16 v11, v67, v41
	ds_write2_b32 v75, v5, v4 offset0:22 offset1:33
	v_pack_b32_f16 v4, v52, v69
	v_pack_b32_f16 v1, v71, v1
	;; [unrolled: 1-line block ×3, first 2 shown]
	ds_write2_b32 v75, v10, v11 offset1:11
	ds_write_b32 v75, v4 offset:176
	ds_write2_b32 v76, v1, v0 offset0:22 offset1:33
	v_pack_b32_f16 v0, v7, v44
	v_pack_b32_f16 v4, v6, v28
	;; [unrolled: 1-line block ×3, first 2 shown]
	ds_write_b32 v76, v0 offset:176
	v_pack_b32_f16 v0, v2, v42
	v_pack_b32_f16 v1, v45, v48
	ds_write2_b32 v76, v4, v5 offset1:11
	ds_write2_b32 v77, v0, v1 offset1:11
	v_pack_b32_f16 v0, v68, v9
	v_pack_b32_f16 v1, v39, v8
	ds_write2_b32 v77, v0, v1 offset0:22 offset1:33
	v_pack_b32_f16 v0, v3, v49
	ds_write_b32 v77, v0 offset:176
	s_waitcnt lgkmcnt(0)
	; wave barrier
	s_waitcnt lgkmcnt(0)
	ds_read2_b32 v[0:1], v53 offset1:55
	ds_read2_b32 v[2:3], v53 offset0:110 offset1:165
	ds_read2_b32 v[4:5], v24 offset0:74 offset1:129
	;; [unrolled: 1-line block ×5, first 2 shown]
	s_waitcnt lgkmcnt(4)
	v_lshrrev_b32_e32 v39, 16, v3
	v_mul_f16_sdwa v67, v12, v39 dst_sel:DWORD dst_unused:UNUSED_PAD src0_sel:WORD_1 src1_sel:DWORD
	s_waitcnt lgkmcnt(3)
	v_lshrrev_b32_e32 v40, 16, v4
	v_fma_f16 v67, v12, v3, v67
	v_mul_f16_sdwa v3, v12, v3 dst_sel:DWORD dst_unused:UNUSED_PAD src0_sel:WORD_1 src1_sel:DWORD
	v_fma_f16 v3, v12, v39, -v3
	v_mul_f16_sdwa v39, v13, v40 dst_sel:DWORD dst_unused:UNUSED_PAD src0_sel:WORD_1 src1_sel:DWORD
	s_waitcnt lgkmcnt(2)
	v_lshrrev_b32_e32 v41, 16, v7
	v_fma_f16 v39, v13, v4, v39
	v_mul_f16_sdwa v4, v13, v4 dst_sel:DWORD dst_unused:UNUSED_PAD src0_sel:WORD_1 src1_sel:DWORD
	v_fma_f16 v4, v13, v40, -v4
	v_mul_f16_sdwa v40, v14, v41 dst_sel:DWORD dst_unused:UNUSED_PAD src0_sel:WORD_1 src1_sel:DWORD
	s_waitcnt lgkmcnt(1)
	v_lshrrev_b32_e32 v42, 16, v8
	v_fma_f16 v40, v14, v7, v40
	v_mul_f16_sdwa v7, v14, v7 dst_sel:DWORD dst_unused:UNUSED_PAD src0_sel:WORD_1 src1_sel:DWORD
	ds_read2_b32 v[26:27], v23 offset0:38 offset1:93
	v_fma_f16 v7, v14, v41, -v7
	v_mul_f16_sdwa v41, v15, v42 dst_sel:DWORD dst_unused:UNUSED_PAD src0_sel:WORD_1 src1_sel:DWORD
	s_waitcnt lgkmcnt(1)
	v_lshrrev_b32_e32 v44, 16, v10
	v_fma_f16 v41, v15, v8, v41
	v_mul_f16_sdwa v8, v15, v8 dst_sel:DWORD dst_unused:UNUSED_PAD src0_sel:WORD_1 src1_sel:DWORD
	v_fma_f16 v8, v15, v42, -v8
	v_mul_f16_sdwa v42, v12, v44 dst_sel:DWORD dst_unused:UNUSED_PAD src0_sel:WORD_1 src1_sel:DWORD
	v_lshrrev_b32_e32 v45, 16, v5
	v_fma_f16 v42, v12, v10, v42
	v_mul_f16_sdwa v10, v12, v10 dst_sel:DWORD dst_unused:UNUSED_PAD src0_sel:WORD_1 src1_sel:DWORD
	v_fma_f16 v10, v12, v44, -v10
	v_mul_f16_sdwa v12, v13, v45 dst_sel:DWORD dst_unused:UNUSED_PAD src0_sel:WORD_1 src1_sel:DWORD
	s_waitcnt lgkmcnt(0)
	v_lshrrev_b32_e32 v46, 16, v26
	v_fma_f16 v12, v13, v5, v12
	v_mul_f16_sdwa v5, v13, v5 dst_sel:DWORD dst_unused:UNUSED_PAD src0_sel:WORD_1 src1_sel:DWORD
	v_fma_f16 v5, v13, v45, -v5
	v_mul_f16_sdwa v13, v14, v46 dst_sel:DWORD dst_unused:UNUSED_PAD src0_sel:WORD_1 src1_sel:DWORD
	v_lshrrev_b32_e32 v47, 16, v9
	v_fma_f16 v13, v14, v26, v13
	v_mul_f16_sdwa v26, v14, v26 dst_sel:DWORD dst_unused:UNUSED_PAD src0_sel:WORD_1 src1_sel:DWORD
	v_fma_f16 v14, v14, v46, -v26
	v_mul_f16_sdwa v26, v15, v47 dst_sel:DWORD dst_unused:UNUSED_PAD src0_sel:WORD_1 src1_sel:DWORD
	v_lshrrev_b32_e32 v50, 16, v11
	v_fma_f16 v26, v15, v9, v26
	v_mul_f16_sdwa v9, v15, v9 dst_sel:DWORD dst_unused:UNUSED_PAD src0_sel:WORD_1 src1_sel:DWORD
	ds_read_b32 v48, v53 offset:3080
	v_fma_f16 v9, v15, v47, -v9
	v_mul_f16_sdwa v15, v16, v50 dst_sel:DWORD dst_unused:UNUSED_PAD src0_sel:WORD_1 src1_sel:DWORD
	v_lshrrev_b32_e32 v51, 16, v6
	v_fma_f16 v15, v16, v11, v15
	v_mul_f16_sdwa v11, v16, v11 dst_sel:DWORD dst_unused:UNUSED_PAD src0_sel:WORD_1 src1_sel:DWORD
	v_fma_f16 v11, v16, v50, -v11
	v_mul_f16_sdwa v16, v17, v51 dst_sel:DWORD dst_unused:UNUSED_PAD src0_sel:WORD_1 src1_sel:DWORD
	v_lshrrev_b32_e32 v52, 16, v27
	v_fma_f16 v16, v17, v6, v16
	v_mul_f16_sdwa v6, v17, v6 dst_sel:DWORD dst_unused:UNUSED_PAD src0_sel:WORD_1 src1_sel:DWORD
	v_fma_f16 v6, v17, v51, -v6
	v_mul_f16_sdwa v17, v18, v52 dst_sel:DWORD dst_unused:UNUSED_PAD src0_sel:WORD_1 src1_sel:DWORD
	s_waitcnt lgkmcnt(0)
	v_lshrrev_b32_e32 v66, 16, v48
	v_fma_f16 v17, v18, v27, v17
	v_mul_f16_sdwa v27, v18, v27 dst_sel:DWORD dst_unused:UNUSED_PAD src0_sel:WORD_1 src1_sel:DWORD
	v_add_f16_e32 v45, v39, v40
	v_fma_f16 v18, v18, v52, -v27
	v_mul_f16_sdwa v27, v19, v66 dst_sel:DWORD dst_unused:UNUSED_PAD src0_sel:WORD_1 src1_sel:DWORD
	v_fma_f16 v45, v45, -0.5, v0
	v_sub_f16_e32 v46, v3, v8
	v_fma_f16 v27, v19, v48, v27
	v_mul_f16_sdwa v44, v19, v48 dst_sel:DWORD dst_unused:UNUSED_PAD src0_sel:WORD_1 src1_sel:DWORD
	v_fma_f16 v47, v46, s1, v45
	v_sub_f16_e32 v48, v4, v7
	v_sub_f16_e32 v50, v67, v39
	;; [unrolled: 1-line block ×3, first 2 shown]
	v_fma_f16 v45, v46, s3, v45
	v_fma_f16 v47, v48, s0, v47
	v_add_f16_e32 v50, v50, v51
	v_fma_f16 v45, v48, s4, v45
	v_fma_f16 v19, v19, v66, -v44
	v_add_f16_e32 v44, v0, v67
	v_fma_f16 v47, v50, s2, v47
	v_fma_f16 v45, v50, s2, v45
	v_add_f16_e32 v50, v67, v41
	v_lshrrev_b32_e32 v28, 16, v0
	v_add_f16_e32 v44, v44, v39
	v_fma_f16 v0, v50, -0.5, v0
	v_add_f16_e32 v44, v44, v40
	v_fma_f16 v50, v48, s3, v0
	v_sub_f16_e32 v51, v39, v67
	v_sub_f16_e32 v52, v40, v41
	v_fma_f16 v0, v48, s1, v0
	v_add_f16_e32 v48, v4, v7
	v_add_f16_e32 v44, v44, v41
	v_fma_f16 v50, v46, s0, v50
	v_add_f16_e32 v51, v51, v52
	v_fma_f16 v0, v46, s4, v0
	v_fma_f16 v48, v48, -0.5, v28
	v_sub_f16_e32 v41, v67, v41
	v_fma_f16 v50, v51, s2, v50
	v_fma_f16 v0, v51, s2, v0
	;; [unrolled: 1-line block ×3, first 2 shown]
	v_sub_f16_e32 v39, v39, v40
	v_fma_f16 v40, v39, s4, v51
	v_sub_f16_e32 v51, v3, v4
	v_sub_f16_e32 v52, v8, v7
	v_fma_f16 v48, v41, s1, v48
	v_add_f16_e32 v46, v28, v3
	v_add_f16_e32 v51, v51, v52
	v_fma_f16 v48, v39, s0, v48
	v_add_f16_e32 v46, v46, v4
	v_fma_f16 v40, v51, s2, v40
	v_fma_f16 v48, v51, s2, v48
	v_add_f16_e32 v51, v3, v8
	v_add_f16_e32 v46, v46, v7
	v_fma_f16 v28, v51, -0.5, v28
	v_add_f16_e32 v46, v46, v8
	v_fma_f16 v51, v39, s1, v28
	v_sub_f16_e32 v3, v4, v3
	v_sub_f16_e32 v4, v7, v8
	v_add_f16_e32 v8, v12, v13
	v_fma_f16 v51, v41, s4, v51
	v_add_f16_e32 v3, v3, v4
	v_fma_f16 v7, v39, s3, v28
	v_fma_f16 v8, v8, -0.5, v1
	v_sub_f16_e32 v28, v10, v9
	v_fma_f16 v4, v3, s2, v51
	v_fma_f16 v7, v41, s0, v7
	;; [unrolled: 1-line block ×3, first 2 shown]
	v_sub_f16_e32 v41, v5, v14
	v_sub_f16_e32 v51, v42, v12
	;; [unrolled: 1-line block ×3, first 2 shown]
	v_fma_f16 v8, v28, s3, v8
	v_fma_f16 v39, v41, s0, v39
	v_add_f16_e32 v51, v51, v52
	v_fma_f16 v8, v41, s4, v8
	v_fma_f16 v3, v3, s2, v7
	v_add_f16_e32 v7, v1, v42
	;; [unrolled: 3-line block ×3, first 2 shown]
	v_lshrrev_b32_e32 v43, 16, v1
	v_add_f16_e32 v7, v7, v12
	v_fma_f16 v1, v51, -0.5, v1
	v_add_f16_e32 v7, v7, v13
	v_fma_f16 v51, v41, s3, v1
	v_fma_f16 v1, v41, s1, v1
	v_add_f16_e32 v41, v5, v14
	v_add_f16_e32 v7, v7, v26
	v_sub_f16_e32 v52, v12, v42
	v_sub_f16_e32 v66, v13, v26
	v_fma_f16 v41, v41, -0.5, v43
	v_sub_f16_e32 v26, v42, v26
	v_fma_f16 v51, v28, s0, v51
	v_add_f16_e32 v52, v52, v66
	v_fma_f16 v1, v28, s4, v1
	v_fma_f16 v42, v26, s3, v41
	v_sub_f16_e32 v12, v12, v13
	v_fma_f16 v51, v52, s2, v51
	v_fma_f16 v1, v52, s2, v1
	;; [unrolled: 1-line block ×3, first 2 shown]
	v_sub_f16_e32 v42, v10, v5
	v_sub_f16_e32 v52, v9, v14
	v_fma_f16 v41, v26, s1, v41
	v_add_f16_e32 v28, v43, v10
	v_add_f16_e32 v42, v42, v52
	v_fma_f16 v41, v12, s0, v41
	v_add_f16_e32 v28, v28, v5
	v_fma_f16 v13, v42, s2, v13
	v_fma_f16 v41, v42, s2, v41
	v_add_f16_e32 v42, v10, v9
	v_add_f16_e32 v28, v28, v14
	v_fma_f16 v42, v42, -0.5, v43
	v_add_f16_e32 v28, v28, v9
	v_fma_f16 v43, v12, s1, v42
	v_sub_f16_e32 v5, v5, v10
	v_sub_f16_e32 v9, v14, v9
	v_fma_f16 v10, v12, s3, v42
	v_add_f16_e32 v12, v16, v17
	v_fma_f16 v43, v26, s4, v43
	v_add_f16_e32 v5, v5, v9
	v_fma_f16 v12, v12, -0.5, v2
	v_sub_f16_e32 v14, v11, v19
	v_fma_f16 v9, v5, s2, v43
	v_fma_f16 v10, v26, s0, v10
	;; [unrolled: 1-line block ×3, first 2 shown]
	v_sub_f16_e32 v42, v6, v18
	v_sub_f16_e32 v43, v15, v16
	;; [unrolled: 1-line block ×3, first 2 shown]
	v_fma_f16 v12, v14, s3, v12
	v_fma_f16 v26, v42, s0, v26
	v_add_f16_e32 v43, v43, v52
	v_fma_f16 v12, v42, s4, v12
	v_fma_f16 v26, v43, s2, v26
	;; [unrolled: 1-line block ×3, first 2 shown]
	v_add_f16_e32 v43, v15, v27
	v_lshrrev_b32_e32 v49, 16, v2
	v_fma_f16 v5, v5, s2, v10
	v_add_f16_e32 v10, v2, v15
	v_fma_f16 v2, v43, -0.5, v2
	v_add_f16_e32 v10, v10, v16
	v_fma_f16 v43, v42, s3, v2
	v_fma_f16 v2, v42, s1, v2
	v_add_f16_e32 v42, v6, v18
	v_add_f16_e32 v10, v10, v17
	v_sub_f16_e32 v52, v16, v15
	v_sub_f16_e32 v66, v17, v27
	v_fma_f16 v42, v42, -0.5, v49
	v_sub_f16_e32 v15, v15, v27
	v_add_f16_e32 v10, v10, v27
	v_fma_f16 v43, v14, s0, v43
	v_add_f16_e32 v52, v52, v66
	v_fma_f16 v2, v14, s4, v2
	v_fma_f16 v27, v15, s3, v42
	v_sub_f16_e32 v16, v16, v17
	v_fma_f16 v43, v52, s2, v43
	v_fma_f16 v2, v52, s2, v2
	;; [unrolled: 1-line block ×3, first 2 shown]
	v_sub_f16_e32 v27, v11, v6
	v_sub_f16_e32 v52, v19, v18
	v_fma_f16 v42, v15, s1, v42
	v_add_f16_e32 v27, v27, v52
	v_fma_f16 v42, v16, s0, v42
	v_fma_f16 v17, v27, s2, v17
	;; [unrolled: 1-line block ×3, first 2 shown]
	v_add_f16_e32 v42, v11, v19
	v_add_f16_e32 v14, v49, v11
	v_fma_f16 v42, v42, -0.5, v49
	v_add_f16_e32 v14, v14, v6
	v_fma_f16 v49, v16, s1, v42
	v_sub_f16_e32 v6, v6, v11
	v_sub_f16_e32 v11, v18, v19
	v_fma_f16 v16, v16, s3, v42
	v_fma_f16 v49, v15, s4, v49
	v_add_f16_e32 v6, v6, v11
	v_fma_f16 v15, v15, s0, v16
	v_fma_f16 v11, v6, s2, v49
	;; [unrolled: 1-line block ×3, first 2 shown]
	v_pack_b32_f16 v15, v44, v46
	v_pack_b32_f16 v16, v47, v40
	;; [unrolled: 1-line block ×4, first 2 shown]
	s_waitcnt lgkmcnt(0)
	; wave barrier
	ds_write2_b32 v53, v15, v16 offset1:55
	ds_write2_b32 v53, v4, v0 offset0:110 offset1:165
	v_pack_b32_f16 v0, v45, v48
	v_pack_b32_f16 v3, v7, v28
	v_add_f16_e32 v14, v14, v18
	ds_write2_b32 v25, v0, v3 offset0:92 offset1:147
	v_pack_b32_f16 v0, v39, v13
	v_pack_b32_f16 v3, v51, v9
	v_add_f16_e32 v14, v14, v19
	ds_write2_b32 v24, v0, v3 offset0:74 offset1:129
	v_pack_b32_f16 v0, v1, v5
	v_pack_b32_f16 v1, v8, v41
	ds_write2_b32 v24, v0, v1 offset0:184 offset1:239
	v_pack_b32_f16 v0, v10, v14
	v_pack_b32_f16 v1, v26, v17
	v_add_u32_e32 v3, 0x800, v78
	ds_write2_b32 v3, v0, v1 offset0:38 offset1:93
	v_pack_b32_f16 v0, v43, v11
	v_pack_b32_f16 v1, v2, v6
	ds_write2_b32 v3, v0, v1 offset0:148 offset1:203
	v_pack_b32_f16 v0, v12, v27
	ds_write_b32 v78, v0 offset:3080
	s_waitcnt lgkmcnt(0)
	; wave barrier
	s_waitcnt lgkmcnt(0)
	ds_read2_b32 v[0:1], v53 offset1:55
	ds_read2_b32 v[2:3], v25 offset0:92 offset1:147
	ds_read2_b32 v[4:5], v23 offset0:38 offset1:93
	;; [unrolled: 1-line block ×5, first 2 shown]
	s_waitcnt lgkmcnt(4)
	v_lshrrev_b32_e32 v15, 16, v3
	v_mul_f16_sdwa v46, v29, v15 dst_sel:DWORD dst_unused:UNUSED_PAD src0_sel:WORD_1 src1_sel:DWORD
	s_waitcnt lgkmcnt(3)
	v_lshrrev_b32_e32 v16, 16, v4
	v_fma_f16 v46, v29, v3, v46
	v_mul_f16_sdwa v3, v29, v3 dst_sel:DWORD dst_unused:UNUSED_PAD src0_sel:WORD_1 src1_sel:DWORD
	v_fma_f16 v3, v29, v15, -v3
	v_mul_f16_sdwa v15, v30, v16 dst_sel:DWORD dst_unused:UNUSED_PAD src0_sel:WORD_1 src1_sel:DWORD
	s_waitcnt lgkmcnt(2)
	v_lshrrev_b32_e32 v18, 16, v6
	v_fma_f16 v15, v30, v4, v15
	v_mul_f16_sdwa v4, v30, v4 dst_sel:DWORD dst_unused:UNUSED_PAD src0_sel:WORD_1 src1_sel:DWORD
	v_fma_f16 v4, v30, v16, -v4
	v_mul_f16_sdwa v16, v31, v18 dst_sel:DWORD dst_unused:UNUSED_PAD src0_sel:WORD_1 src1_sel:DWORD
	v_lshrrev_b32_e32 v19, 16, v5
	v_fma_f16 v16, v31, v6, v16
	v_mul_f16_sdwa v6, v31, v6 dst_sel:DWORD dst_unused:UNUSED_PAD src0_sel:WORD_1 src1_sel:DWORD
	v_fma_f16 v6, v31, v18, -v6
	v_mul_f16_sdwa v18, v32, v19 dst_sel:DWORD dst_unused:UNUSED_PAD src0_sel:WORD_1 src1_sel:DWORD
	;; [unrolled: 5-line block ×3, first 2 shown]
	s_waitcnt lgkmcnt(1)
	v_lshrrev_b32_e32 v28, 16, v10
	v_fma_f16 v19, v33, v7, v19
	v_mul_f16_sdwa v7, v33, v7 dst_sel:DWORD dst_unused:UNUSED_PAD src0_sel:WORD_1 src1_sel:DWORD
	v_fma_f16 v7, v33, v27, -v7
	v_mul_f16_sdwa v27, v34, v28 dst_sel:DWORD dst_unused:UNUSED_PAD src0_sel:WORD_1 src1_sel:DWORD
	s_waitcnt lgkmcnt(0)
	v_lshrrev_b32_e32 v41, 16, v12
	v_fma_f16 v27, v34, v10, v27
	v_mul_f16_sdwa v10, v34, v10 dst_sel:DWORD dst_unused:UNUSED_PAD src0_sel:WORD_1 src1_sel:DWORD
	v_fma_f16 v10, v34, v28, -v10
	v_mul_f16_sdwa v28, v35, v41 dst_sel:DWORD dst_unused:UNUSED_PAD src0_sel:WORD_1 src1_sel:DWORD
	v_add_f16_e32 v34, v46, v15
	v_lshrrev_b32_e32 v14, 16, v0
	v_fma_f16 v28, v35, v12, v28
	v_mul_f16_sdwa v12, v35, v12 dst_sel:DWORD dst_unused:UNUSED_PAD src0_sel:WORD_1 src1_sel:DWORD
	v_add_f16_e32 v33, v0, v46
	v_fma_f16 v0, v34, -0.5, v0
	v_sub_f16_e32 v34, v3, v4
	s_mov_b32 s0, 0xbaee
	s_movk_i32 s1, 0x3aee
	v_lshrrev_b32_e32 v42, 16, v11
	v_fma_f16 v12, v35, v41, -v12
	v_fma_f16 v35, v34, s0, v0
	v_fma_f16 v0, v34, s1, v0
	v_add_f16_e32 v34, v14, v3
	v_add_f16_e32 v3, v3, v4
	ds_read2_b32 v[8:9], v53 offset0:110 offset1:165
	v_mul_f16_sdwa v29, v36, v42 dst_sel:DWORD dst_unused:UNUSED_PAD src0_sel:WORD_1 src1_sel:DWORD
	v_add_f16_e32 v33, v33, v15
	v_add_f16_e32 v34, v34, v4
	v_fma_f16 v3, v3, -0.5, v14
	v_sub_f16_e32 v4, v46, v15
	v_add_f16_e32 v15, v16, v18
	v_lshrrev_b32_e32 v17, 16, v1
	v_fma_f16 v29, v36, v11, v29
	v_mul_f16_sdwa v11, v36, v11 dst_sel:DWORD dst_unused:UNUSED_PAD src0_sel:WORD_1 src1_sel:DWORD
	v_fma_f16 v14, v4, s1, v3
	v_fma_f16 v3, v4, s0, v3
	v_add_f16_e32 v4, v1, v16
	v_fma_f16 v1, v15, -0.5, v1
	v_sub_f16_e32 v15, v6, v5
	v_fma_f16 v11, v36, v42, -v11
	v_fma_f16 v36, v15, s0, v1
	v_fma_f16 v1, v15, s1, v1
	v_add_f16_e32 v15, v17, v6
	ds_read_b32 v40, v53 offset:3080
	v_add_f16_e32 v15, v15, v5
	v_add_f16_e32 v5, v6, v5
	v_fma_f16 v5, v5, -0.5, v17
	v_sub_f16_e32 v6, v16, v18
	v_add_f16_e32 v17, v19, v27
	s_waitcnt lgkmcnt(1)
	v_lshrrev_b32_e32 v26, 16, v8
	v_fma_f16 v16, v6, s1, v5
	v_fma_f16 v5, v6, s0, v5
	v_add_f16_e32 v6, v8, v19
	v_fma_f16 v8, v17, -0.5, v8
	v_sub_f16_e32 v17, v7, v10
	v_add_f16_e32 v4, v4, v18
	v_fma_f16 v18, v17, s0, v8
	v_fma_f16 v8, v17, s1, v8
	v_add_f16_e32 v17, v26, v7
	v_add_f16_e32 v7, v7, v10
	;; [unrolled: 1-line block ×3, first 2 shown]
	v_fma_f16 v7, v7, -0.5, v26
	v_sub_f16_e32 v10, v19, v27
	v_add_f16_e32 v26, v28, v29
	v_lshrrev_b32_e32 v39, 16, v9
	v_lshrrev_b32_e32 v44, 16, v13
	s_waitcnt lgkmcnt(0)
	v_lshrrev_b32_e32 v45, 16, v40
	v_fma_f16 v19, v10, s1, v7
	v_fma_f16 v7, v10, s0, v7
	v_add_f16_e32 v10, v9, v28
	v_fma_f16 v9, v26, -0.5, v9
	v_sub_f16_e32 v26, v12, v11
	v_mul_f16_sdwa v30, v37, v44 dst_sel:DWORD dst_unused:UNUSED_PAD src0_sel:WORD_1 src1_sel:DWORD
	v_mul_f16_sdwa v31, v38, v45 dst_sel:DWORD dst_unused:UNUSED_PAD src0_sel:WORD_1 src1_sel:DWORD
	v_add_f16_e32 v6, v6, v27
	v_fma_f16 v27, v26, s0, v9
	v_fma_f16 v9, v26, s1, v9
	v_add_f16_e32 v26, v39, v12
	v_fma_f16 v30, v37, v13, v30
	v_mul_f16_sdwa v13, v37, v13 dst_sel:DWORD dst_unused:UNUSED_PAD src0_sel:WORD_1 src1_sel:DWORD
	v_fma_f16 v31, v38, v40, v31
	v_mul_f16_sdwa v32, v38, v40 dst_sel:DWORD dst_unused:UNUSED_PAD src0_sel:WORD_1 src1_sel:DWORD
	v_add_f16_e32 v26, v26, v11
	v_add_f16_e32 v11, v12, v11
	v_fma_f16 v13, v37, v44, -v13
	v_fma_f16 v32, v38, v45, -v32
	v_add_f16_e32 v10, v10, v29
	v_fma_f16 v11, v11, -0.5, v39
	v_sub_f16_e32 v12, v28, v29
	v_add_f16_e32 v29, v30, v31
	v_lshrrev_b32_e32 v43, 16, v2
	v_fma_f16 v28, v12, s1, v11
	v_fma_f16 v11, v12, s0, v11
	v_add_f16_e32 v12, v2, v30
	v_fma_f16 v2, v29, -0.5, v2
	v_sub_f16_e32 v29, v13, v32
	v_fma_f16 v37, v29, s0, v2
	v_fma_f16 v2, v29, s1, v2
	v_add_f16_e32 v29, v43, v13
	v_add_f16_e32 v13, v13, v32
	v_fma_f16 v13, v13, -0.5, v43
	v_sub_f16_e32 v30, v30, v31
	v_pack_b32_f16 v0, v0, v3
	v_add_f16_e32 v12, v12, v31
	v_fma_f16 v31, v30, s1, v13
	v_fma_f16 v13, v30, s0, v13
	v_pack_b32_f16 v30, v33, v34
	v_pack_b32_f16 v14, v35, v14
	ds_write_b32 v53, v0 offset:2200
	v_pack_b32_f16 v0, v4, v15
	ds_write_b32 v53, v14 offset:1100
	ds_write2_b32 v53, v30, v0 offset1:55
	v_pack_b32_f16 v0, v36, v16
	v_pack_b32_f16 v4, v18, v19
	;; [unrolled: 1-line block ×3, first 2 shown]
	ds_write2_b32 v24, v0, v4 offset0:74 offset1:129
	v_pack_b32_f16 v0, v8, v7
	v_add_f16_e32 v29, v29, v32
	v_pack_b32_f16 v3, v6, v17
	ds_write2_b32 v23, v1, v0 offset0:93 offset1:148
	v_pack_b32_f16 v0, v10, v26
	v_pack_b32_f16 v1, v9, v11
	ds_write2_b32 v53, v3, v0 offset0:110 offset1:165
	ds_write_b32 v53, v1 offset:2860
	v_pack_b32_f16 v1, v12, v29
	v_pack_b32_f16 v0, v27, v28
	ds_write_b32 v53, v1 offset:880
	v_pack_b32_f16 v1, v37, v31
	ds_write2_b32 v24, v0, v1 offset0:184 offset1:239
	v_pack_b32_f16 v0, v2, v13
	ds_write_b32 v53, v0 offset:3080
	s_waitcnt lgkmcnt(0)
	; wave barrier
	s_waitcnt lgkmcnt(0)
	ds_read2_b32 v[0:1], v53 offset1:75
	s_mov_b32 s12, 0x3dc013dc
	s_mov_b32 s13, 0x3f53dc01
	v_mad_u64_u32 v[3:4], s[0:1], s10, v22, 0
	s_waitcnt lgkmcnt(0)
	v_lshrrev_b32_e32 v9, 16, v0
	v_mul_f16_sdwa v2, v65, v9 dst_sel:DWORD dst_unused:UNUSED_PAD src0_sel:WORD_1 src1_sel:DWORD
	v_fma_f16 v2, v65, v0, v2
	v_cvt_f32_f16_e32 v2, v2
	s_movk_i32 s15, 0x1ff
	s_movk_i32 s10, 0xffe
	v_mul_f16_sdwa v0, v65, v0 dst_sel:DWORD dst_unused:UNUSED_PAD src0_sel:WORD_1 src1_sel:DWORD
	v_cvt_f64_f32_e32 v[5:6], v2
	v_mov_b32_e32 v2, v4
	v_mad_u64_u32 v[7:8], s[0:1], s11, v22, v[2:3]
	v_mul_f64 v[5:6], v[5:6], s[12:13]
	v_fma_f16 v0, v65, v9, -v0
	v_mov_b32_e32 v4, v7
	v_cvt_f32_f16_e32 v0, v0
	s_movk_i32 s11, 0x40f
	s_mov_b32 s14, 0x8000
	v_lshlrev_b64 v[3:4], 2, v[3:4]
	v_and_or_b32 v2, v6, s15, v5
	v_cmp_ne_u32_e64 s[0:1], 0, v2
	v_cndmask_b32_e64 v2, 0, 1, s[0:1]
	v_lshrrev_b32_e32 v5, 8, v6
	v_bfe_u32 v7, v6, 20, 11
	v_and_or_b32 v5, v5, s10, v2
	v_sub_u32_e32 v8, 0x3f1, v7
	v_or_b32_e32 v2, 0x1000, v5
	v_med3_i32 v8, v8, 0, 13
	v_lshrrev_b32_e32 v10, v8, v2
	v_lshlrev_b32_e32 v8, v8, v10
	v_cmp_ne_u32_e64 s[0:1], v8, v2
	v_cndmask_b32_e64 v2, 0, 1, s[0:1]
	v_or_b32_e32 v2, v10, v2
	v_add_u32_e32 v10, 0xfffffc10, v7
	v_lshl_or_b32 v7, v10, 12, v5
	v_cmp_gt_i32_e64 s[0:1], 1, v10
	v_cndmask_b32_e64 v2, v7, v2, s[0:1]
	v_and_b32_e32 v7, 7, v2
	v_cmp_lt_i32_e64 s[0:1], 5, v7
	v_cmp_eq_u32_e64 s[2:3], 3, v7
	v_cvt_f64_f32_e32 v[7:8], v0
	v_lshrrev_b32_e32 v2, 2, v2
	s_or_b64 s[0:1], s[2:3], s[0:1]
	v_addc_co_u32_e64 v9, s[0:1], 0, v2, s[0:1]
	v_mul_f64 v[7:8], v[7:8], s[12:13]
	v_mov_b32_e32 v2, 0x7c00
	v_cmp_gt_i32_e64 s[0:1], 31, v10
	v_cndmask_b32_e64 v0, v2, v9, s[0:1]
	v_cmp_ne_u32_e64 s[0:1], 0, v5
	v_cndmask_b32_e64 v5, 0, 1, s[0:1]
	v_lshl_or_b32 v5, v5, 9, v2
	v_cmp_eq_u32_e64 s[0:1], s11, v10
	v_cndmask_b32_e64 v0, v0, v5, s[0:1]
	v_lshrrev_b32_e32 v5, 16, v6
	v_and_or_b32 v9, v5, s14, v0
	v_and_or_b32 v0, v8, s15, v7
	v_cmp_ne_u32_e64 s[0:1], 0, v0
	v_cndmask_b32_e64 v0, 0, 1, s[0:1]
	v_lshrrev_b32_e32 v5, 8, v8
	v_bfe_u32 v6, v8, 20, 11
	v_and_or_b32 v0, v5, s10, v0
	v_sub_u32_e32 v7, 0x3f1, v6
	v_or_b32_e32 v5, 0x1000, v0
	v_med3_i32 v7, v7, 0, 13
	v_lshrrev_b32_e32 v10, v7, v5
	v_lshlrev_b32_e32 v7, v7, v10
	v_cmp_ne_u32_e64 s[0:1], v7, v5
	v_cndmask_b32_e64 v5, 0, 1, s[0:1]
	v_add_u32_e32 v7, 0xfffffc10, v6
	v_or_b32_e32 v5, v10, v5
	v_lshl_or_b32 v6, v7, 12, v0
	v_cmp_gt_i32_e64 s[0:1], 1, v7
	v_cndmask_b32_e64 v5, v6, v5, s[0:1]
	v_and_b32_e32 v6, 7, v5
	v_cmp_lt_i32_e64 s[0:1], 5, v6
	v_cmp_eq_u32_e64 s[2:3], 3, v6
	v_lshrrev_b32_e32 v5, 2, v5
	s_or_b64 s[0:1], s[2:3], s[0:1]
	v_addc_co_u32_e64 v5, s[0:1], 0, v5, s[0:1]
	v_cmp_gt_i32_e64 s[0:1], 31, v7
	v_cndmask_b32_e64 v10, v2, v5, s[0:1]
	v_cmp_ne_u32_e64 s[0:1], 0, v0
	v_cndmask_b32_e64 v0, 0, 1, s[0:1]
	v_mad_u64_u32 v[5:6], s[0:1], s8, v64, 0
	v_lshl_or_b32 v0, v0, 9, v2
	v_cmp_eq_u32_e64 s[0:1], s11, v7
	v_cndmask_b32_e64 v10, v10, v0, s[0:1]
	v_mov_b32_e32 v0, v6
	v_mad_u64_u32 v[6:7], s[0:1], s9, v64, v[0:1]
	v_lshrrev_b32_e32 v0, 16, v1
	v_mul_f16_sdwa v7, v63, v0 dst_sel:DWORD dst_unused:UNUSED_PAD src0_sel:WORD_1 src1_sel:DWORD
	v_fma_f16 v7, v63, v1, v7
	v_cvt_f32_f16_e32 v7, v7
	v_lshrrev_b32_e32 v8, 16, v8
	v_and_or_b32 v10, v8, s14, v10
	v_and_b32_e32 v9, 0xffff, v9
	v_cvt_f64_f32_e32 v[7:8], v7
	v_lshl_or_b32 v9, v10, 16, v9
	v_mov_b32_e32 v10, s7
	v_add_co_u32_e64 v11, s[0:1], s6, v3
	v_mul_f64 v[7:8], v[7:8], s[12:13]
	v_addc_co_u32_e64 v10, s[0:1], v10, v4, s[0:1]
	v_lshlrev_b64 v[3:4], 2, v[5:6]
	v_mul_f16_sdwa v1, v63, v1 dst_sel:DWORD dst_unused:UNUSED_PAD src0_sel:WORD_1 src1_sel:DWORD
	v_add_co_u32_e64 v3, s[0:1], v11, v3
	v_addc_co_u32_e64 v4, s[0:1], v10, v4, s[0:1]
	v_and_or_b32 v5, v8, s15, v7
	v_cmp_ne_u32_e64 s[0:1], 0, v5
	v_fma_f16 v0, v63, v0, -v1
	v_cndmask_b32_e64 v5, 0, 1, s[0:1]
	v_lshrrev_b32_e32 v6, 8, v8
	v_bfe_u32 v7, v8, 20, 11
	v_cvt_f32_f16_e32 v0, v0
	global_store_dword v[3:4], v9, off
	v_and_or_b32 v5, v6, s10, v5
	v_sub_u32_e32 v9, 0x3f1, v7
	v_or_b32_e32 v6, 0x1000, v5
	v_med3_i32 v9, v9, 0, 13
	v_lshrrev_b32_e32 v10, v9, v6
	v_lshlrev_b32_e32 v9, v9, v10
	v_cvt_f64_f32_e32 v[0:1], v0
	v_cmp_ne_u32_e64 s[0:1], v9, v6
	v_cndmask_b32_e64 v6, 0, 1, s[0:1]
	v_add_u32_e32 v7, 0xfffffc10, v7
	v_or_b32_e32 v6, v10, v6
	v_lshl_or_b32 v9, v7, 12, v5
	v_cmp_gt_i32_e64 s[0:1], 1, v7
	v_cndmask_b32_e64 v6, v9, v6, s[0:1]
	v_mul_f64 v[0:1], v[0:1], s[12:13]
	v_and_b32_e32 v9, 7, v6
	v_cmp_lt_i32_e64 s[0:1], 5, v9
	v_cmp_eq_u32_e64 s[2:3], 3, v9
	v_lshrrev_b32_e32 v6, 2, v6
	s_or_b64 s[0:1], s[2:3], s[0:1]
	v_addc_co_u32_e64 v6, s[0:1], 0, v6, s[0:1]
	v_cmp_gt_i32_e64 s[0:1], 31, v7
	v_cndmask_b32_e64 v6, v2, v6, s[0:1]
	v_cmp_ne_u32_e64 s[0:1], 0, v5
	v_cndmask_b32_e64 v5, 0, 1, s[0:1]
	v_lshl_or_b32 v5, v5, 9, v2
	v_cmp_eq_u32_e64 s[0:1], s11, v7
	v_and_or_b32 v0, v1, s15, v0
	v_cndmask_b32_e64 v5, v6, v5, s[0:1]
	v_lshrrev_b32_e32 v6, 16, v8
	v_cmp_ne_u32_e64 s[0:1], 0, v0
	v_and_or_b32 v7, v6, s14, v5
	v_cndmask_b32_e64 v0, 0, 1, s[0:1]
	v_lshrrev_b32_e32 v5, 8, v1
	v_bfe_u32 v6, v1, 20, 11
	v_and_or_b32 v0, v5, s10, v0
	v_sub_u32_e32 v8, 0x3f1, v6
	v_or_b32_e32 v5, 0x1000, v0
	v_med3_i32 v8, v8, 0, 13
	v_lshrrev_b32_e32 v9, v8, v5
	v_lshlrev_b32_e32 v8, v8, v9
	v_cmp_ne_u32_e64 s[0:1], v8, v5
	v_cndmask_b32_e64 v5, 0, 1, s[0:1]
	v_add_u32_e32 v8, 0xfffffc10, v6
	v_or_b32_e32 v5, v9, v5
	v_lshl_or_b32 v6, v8, 12, v0
	v_cmp_gt_i32_e64 s[0:1], 1, v8
	v_cndmask_b32_e64 v5, v6, v5, s[0:1]
	v_and_b32_e32 v6, 7, v5
	v_cmp_lt_i32_e64 s[0:1], 5, v6
	v_cmp_eq_u32_e64 s[2:3], 3, v6
	v_lshrrev_b32_e32 v5, 2, v5
	s_or_b64 s[0:1], s[2:3], s[0:1]
	v_addc_co_u32_e64 v5, s[0:1], 0, v5, s[0:1]
	v_cmp_gt_i32_e64 s[0:1], 31, v8
	v_cndmask_b32_e64 v9, v2, v5, s[0:1]
	ds_read2_b32 v[5:6], v53 offset0:150 offset1:225
	v_cmp_ne_u32_e64 s[0:1], 0, v0
	v_cndmask_b32_e64 v0, 0, 1, s[0:1]
	v_lshl_or_b32 v0, v0, 9, v2
	v_cmp_eq_u32_e64 s[0:1], s11, v8
	v_cndmask_b32_e64 v0, v9, v0, s[0:1]
	v_lshrrev_b32_e32 v1, 16, v1
	s_waitcnt lgkmcnt(0)
	v_lshrrev_b32_e32 v9, 16, v5
	v_and_or_b32 v8, v1, s14, v0
	v_mul_f16_sdwa v0, v62, v9 dst_sel:DWORD dst_unused:UNUSED_PAD src0_sel:WORD_1 src1_sel:DWORD
	v_fma_f16 v0, v62, v5, v0
	v_cvt_f32_f16_e32 v0, v0
	v_and_b32_e32 v7, 0xffff, v7
	v_lshl_or_b32 v10, v8, 16, v7
	s_mul_i32 s0, s9, 0x4b
	v_cvt_f64_f32_e32 v[0:1], v0
	s_mul_hi_u32 s1, s8, 0x4b
	s_add_i32 s1, s1, s0
	s_mul_i32 s0, s8, 0x4b
	v_mul_f64 v[7:8], v[0:1], s[12:13]
	s_lshl_b64 s[6:7], s[0:1], 2
	v_mov_b32_e32 v1, s7
	v_add_co_u32_e64 v3, s[0:1], s6, v3
	v_addc_co_u32_e64 v4, s[0:1], v4, v1, s[0:1]
	global_store_dword v[3:4], v10, off
	v_and_or_b32 v0, v8, s15, v7
	v_cmp_ne_u32_e64 s[0:1], 0, v0
	v_cndmask_b32_e64 v0, 0, 1, s[0:1]
	v_lshrrev_b32_e32 v7, 8, v8
	v_bfe_u32 v10, v8, 20, 11
	v_and_or_b32 v0, v7, s10, v0
	v_sub_u32_e32 v11, 0x3f1, v10
	v_or_b32_e32 v7, 0x1000, v0
	v_med3_i32 v11, v11, 0, 13
	v_lshrrev_b32_e32 v12, v11, v7
	v_lshlrev_b32_e32 v11, v11, v12
	v_mul_f16_sdwa v5, v62, v5 dst_sel:DWORD dst_unused:UNUSED_PAD src0_sel:WORD_1 src1_sel:DWORD
	v_cmp_ne_u32_e64 s[0:1], v11, v7
	v_fma_f16 v5, v62, v9, -v5
	v_cndmask_b32_e64 v7, 0, 1, s[0:1]
	v_add_u32_e32 v11, 0xfffffc10, v10
	v_cvt_f32_f16_e32 v5, v5
	v_or_b32_e32 v7, v12, v7
	v_lshl_or_b32 v10, v11, 12, v0
	v_cmp_gt_i32_e64 s[0:1], 1, v11
	v_cndmask_b32_e64 v7, v10, v7, s[0:1]
	v_and_b32_e32 v10, 7, v7
	v_cmp_lt_i32_e64 s[0:1], 5, v10
	v_cmp_eq_u32_e64 s[2:3], 3, v10
	v_cvt_f64_f32_e32 v[9:10], v5
	v_lshrrev_b32_e32 v7, 2, v7
	s_or_b64 s[0:1], s[2:3], s[0:1]
	v_addc_co_u32_e64 v5, s[0:1], 0, v7, s[0:1]
	v_mul_f64 v[9:10], v[9:10], s[12:13]
	v_cmp_gt_i32_e64 s[0:1], 31, v11
	v_cndmask_b32_e64 v5, v2, v5, s[0:1]
	v_cmp_ne_u32_e64 s[0:1], 0, v0
	v_cndmask_b32_e64 v0, 0, 1, s[0:1]
	v_lshl_or_b32 v0, v0, 9, v2
	v_cmp_eq_u32_e64 s[0:1], s11, v11
	v_cndmask_b32_e64 v0, v5, v0, s[0:1]
	v_lshrrev_b32_e32 v5, 16, v8
	v_and_or_b32 v0, v5, s14, v0
	v_and_or_b32 v5, v10, s15, v9
	v_cmp_ne_u32_e64 s[0:1], 0, v5
	v_cndmask_b32_e64 v5, 0, 1, s[0:1]
	v_lshrrev_b32_e32 v7, 8, v10
	v_bfe_u32 v8, v10, 20, 11
	v_and_or_b32 v5, v7, s10, v5
	v_sub_u32_e32 v9, 0x3f1, v8
	v_or_b32_e32 v7, 0x1000, v5
	v_med3_i32 v9, v9, 0, 13
	v_lshrrev_b32_e32 v11, v9, v7
	v_lshlrev_b32_e32 v9, v9, v11
	v_cmp_ne_u32_e64 s[0:1], v9, v7
	v_cndmask_b32_e64 v7, 0, 1, s[0:1]
	v_add_u32_e32 v9, 0xfffffc10, v8
	v_or_b32_e32 v7, v11, v7
	v_lshl_or_b32 v8, v9, 12, v5
	v_cmp_gt_i32_e64 s[0:1], 1, v9
	v_cndmask_b32_e64 v7, v8, v7, s[0:1]
	v_and_b32_e32 v8, 7, v7
	v_cmp_lt_i32_e64 s[0:1], 5, v8
	v_cmp_eq_u32_e64 s[2:3], 3, v8
	v_lshrrev_b32_e32 v7, 2, v7
	s_or_b64 s[0:1], s[2:3], s[0:1]
	v_addc_co_u32_e64 v7, s[0:1], 0, v7, s[0:1]
	v_cmp_gt_i32_e64 s[0:1], 31, v9
	v_lshrrev_b32_e32 v12, 16, v6
	v_cndmask_b32_e64 v11, v2, v7, s[0:1]
	v_mul_f16_sdwa v7, v61, v12 dst_sel:DWORD dst_unused:UNUSED_PAD src0_sel:WORD_1 src1_sel:DWORD
	v_fma_f16 v7, v61, v6, v7
	v_cvt_f32_f16_e32 v7, v7
	v_cmp_ne_u32_e64 s[0:1], 0, v5
	v_cndmask_b32_e64 v5, 0, 1, s[0:1]
	v_lshl_or_b32 v5, v5, 9, v2
	v_cvt_f64_f32_e32 v[7:8], v7
	v_cmp_eq_u32_e64 s[0:1], s11, v9
	v_cndmask_b32_e64 v5, v11, v5, s[0:1]
	v_lshrrev_b32_e32 v9, 16, v10
	v_mul_f64 v[7:8], v[7:8], s[12:13]
	v_and_or_b32 v5, v9, s14, v5
	v_and_b32_e32 v0, 0xffff, v0
	v_add_co_u32_e64 v3, s[0:1], s6, v3
	v_lshl_or_b32 v0, v5, 16, v0
	v_addc_co_u32_e64 v4, s[0:1], v4, v1, s[0:1]
	global_store_dword v[3:4], v0, off
	v_and_or_b32 v0, v8, s15, v7
	v_cmp_ne_u32_e64 s[0:1], 0, v0
	v_cndmask_b32_e64 v0, 0, 1, s[0:1]
	v_lshrrev_b32_e32 v5, 8, v8
	v_bfe_u32 v7, v8, 20, 11
	v_and_or_b32 v0, v5, s10, v0
	v_sub_u32_e32 v9, 0x3f1, v7
	v_or_b32_e32 v5, 0x1000, v0
	v_med3_i32 v9, v9, 0, 13
	v_lshrrev_b32_e32 v10, v9, v5
	v_lshlrev_b32_e32 v9, v9, v10
	v_mul_f16_sdwa v6, v61, v6 dst_sel:DWORD dst_unused:UNUSED_PAD src0_sel:WORD_1 src1_sel:DWORD
	v_cmp_ne_u32_e64 s[0:1], v9, v5
	v_fma_f16 v6, v61, v12, -v6
	v_cndmask_b32_e64 v5, 0, 1, s[0:1]
	v_add_u32_e32 v7, 0xfffffc10, v7
	v_cvt_f32_f16_e32 v6, v6
	v_or_b32_e32 v5, v10, v5
	v_lshl_or_b32 v9, v7, 12, v0
	v_cmp_gt_i32_e64 s[0:1], 1, v7
	v_cndmask_b32_e64 v5, v9, v5, s[0:1]
	v_and_b32_e32 v9, 7, v5
	v_cmp_lt_i32_e64 s[0:1], 5, v9
	v_cmp_eq_u32_e64 s[2:3], 3, v9
	v_lshrrev_b32_e32 v9, 2, v5
	v_cvt_f64_f32_e32 v[5:6], v6
	s_or_b64 s[0:1], s[2:3], s[0:1]
	v_addc_co_u32_e64 v9, s[0:1], 0, v9, s[0:1]
	v_mul_f64 v[5:6], v[5:6], s[12:13]
	v_cmp_gt_i32_e64 s[0:1], 31, v7
	v_cndmask_b32_e64 v9, v2, v9, s[0:1]
	v_cmp_ne_u32_e64 s[0:1], 0, v0
	v_cndmask_b32_e64 v0, 0, 1, s[0:1]
	v_lshl_or_b32 v0, v0, 9, v2
	v_cmp_eq_u32_e64 s[0:1], s11, v7
	v_cndmask_b32_e64 v0, v9, v0, s[0:1]
	v_and_or_b32 v5, v6, s15, v5
	v_lshrrev_b32_e32 v7, 16, v8
	v_cmp_ne_u32_e64 s[0:1], 0, v5
	v_and_or_b32 v0, v7, s14, v0
	v_cndmask_b32_e64 v5, 0, 1, s[0:1]
	v_lshrrev_b32_e32 v7, 8, v6
	v_bfe_u32 v8, v6, 20, 11
	v_and_or_b32 v5, v7, s10, v5
	v_sub_u32_e32 v9, 0x3f1, v8
	v_or_b32_e32 v7, 0x1000, v5
	v_med3_i32 v9, v9, 0, 13
	v_lshrrev_b32_e32 v10, v9, v7
	v_lshlrev_b32_e32 v9, v9, v10
	v_cmp_ne_u32_e64 s[0:1], v9, v7
	v_cndmask_b32_e64 v7, 0, 1, s[0:1]
	v_add_u32_e32 v11, 0xfffffc10, v8
	v_or_b32_e32 v7, v10, v7
	v_lshl_or_b32 v8, v11, 12, v5
	v_cmp_gt_i32_e64 s[0:1], 1, v11
	v_cndmask_b32_e64 v7, v8, v7, s[0:1]
	v_and_b32_e32 v8, 7, v7
	v_cmp_lt_i32_e64 s[0:1], 5, v8
	v_cmp_eq_u32_e64 s[2:3], 3, v8
	v_lshrrev_b32_e32 v9, 2, v7
	ds_read2_b32 v[7:8], v24 offset0:44 offset1:119
	s_or_b64 s[0:1], s[2:3], s[0:1]
	v_addc_co_u32_e64 v9, s[0:1], 0, v9, s[0:1]
	v_cmp_gt_i32_e64 s[0:1], 31, v11
	s_waitcnt lgkmcnt(0)
	v_lshrrev_b32_e32 v13, 16, v7
	v_cndmask_b32_e64 v12, v2, v9, s[0:1]
	v_mul_f16_sdwa v9, v60, v13 dst_sel:DWORD dst_unused:UNUSED_PAD src0_sel:WORD_1 src1_sel:DWORD
	v_fma_f16 v9, v60, v7, v9
	v_cvt_f32_f16_e32 v9, v9
	v_cmp_ne_u32_e64 s[0:1], 0, v5
	v_cndmask_b32_e64 v5, 0, 1, s[0:1]
	v_lshl_or_b32 v5, v5, 9, v2
	v_cvt_f64_f32_e32 v[9:10], v9
	v_cmp_eq_u32_e64 s[0:1], s11, v11
	v_cndmask_b32_e64 v5, v12, v5, s[0:1]
	v_lshrrev_b32_e32 v6, 16, v6
	v_and_or_b32 v11, v6, s14, v5
	v_mul_f64 v[5:6], v[9:10], s[12:13]
	v_and_b32_e32 v0, 0xffff, v0
	v_add_co_u32_e64 v3, s[0:1], s6, v3
	v_lshl_or_b32 v0, v11, 16, v0
	v_addc_co_u32_e64 v4, s[0:1], v4, v1, s[0:1]
	global_store_dword v[3:4], v0, off
	v_and_or_b32 v0, v6, s15, v5
	v_cmp_ne_u32_e64 s[0:1], 0, v0
	v_cndmask_b32_e64 v0, 0, 1, s[0:1]
	v_lshrrev_b32_e32 v5, 8, v6
	v_bfe_u32 v9, v6, 20, 11
	v_and_or_b32 v0, v5, s10, v0
	v_sub_u32_e32 v10, 0x3f1, v9
	v_or_b32_e32 v5, 0x1000, v0
	v_med3_i32 v10, v10, 0, 13
	v_lshrrev_b32_e32 v11, v10, v5
	v_lshlrev_b32_e32 v10, v10, v11
	v_cmp_ne_u32_e64 s[0:1], v10, v5
	v_mul_f16_sdwa v7, v60, v7 dst_sel:DWORD dst_unused:UNUSED_PAD src0_sel:WORD_1 src1_sel:DWORD
	v_cndmask_b32_e64 v5, 0, 1, s[0:1]
	v_fma_f16 v7, v60, v13, -v7
	v_or_b32_e32 v5, v11, v5
	v_add_u32_e32 v11, 0xfffffc10, v9
	v_cvt_f32_f16_e32 v7, v7
	v_lshl_or_b32 v9, v11, 12, v0
	v_cmp_gt_i32_e64 s[0:1], 1, v11
	v_cndmask_b32_e64 v5, v9, v5, s[0:1]
	v_and_b32_e32 v9, 7, v5
	v_cmp_lt_i32_e64 s[0:1], 5, v9
	v_cmp_eq_u32_e64 s[2:3], 3, v9
	v_cvt_f64_f32_e32 v[9:10], v7
	v_lshrrev_b32_e32 v5, 2, v5
	s_or_b64 s[0:1], s[2:3], s[0:1]
	v_addc_co_u32_e64 v5, s[0:1], 0, v5, s[0:1]
	v_mul_f64 v[9:10], v[9:10], s[12:13]
	v_cmp_gt_i32_e64 s[0:1], 31, v11
	v_cndmask_b32_e64 v5, v2, v5, s[0:1]
	v_cmp_ne_u32_e64 s[0:1], 0, v0
	v_cndmask_b32_e64 v0, 0, 1, s[0:1]
	v_lshl_or_b32 v0, v0, 9, v2
	v_cmp_eq_u32_e64 s[0:1], s11, v11
	v_cndmask_b32_e64 v0, v5, v0, s[0:1]
	v_lshrrev_b32_e32 v5, 16, v6
	v_and_or_b32 v0, v5, s14, v0
	v_and_or_b32 v5, v10, s15, v9
	v_cmp_ne_u32_e64 s[0:1], 0, v5
	v_cndmask_b32_e64 v5, 0, 1, s[0:1]
	v_lshrrev_b32_e32 v6, 8, v10
	v_bfe_u32 v7, v10, 20, 11
	v_and_or_b32 v5, v6, s10, v5
	v_sub_u32_e32 v9, 0x3f1, v7
	v_or_b32_e32 v6, 0x1000, v5
	v_med3_i32 v9, v9, 0, 13
	v_lshrrev_b32_e32 v11, v9, v6
	v_lshlrev_b32_e32 v9, v9, v11
	v_cmp_ne_u32_e64 s[0:1], v9, v6
	v_cndmask_b32_e64 v6, 0, 1, s[0:1]
	v_add_u32_e32 v7, 0xfffffc10, v7
	v_or_b32_e32 v6, v11, v6
	v_lshl_or_b32 v9, v7, 12, v5
	v_cmp_gt_i32_e64 s[0:1], 1, v7
	v_cndmask_b32_e64 v6, v9, v6, s[0:1]
	v_and_b32_e32 v9, 7, v6
	v_cmp_lt_i32_e64 s[0:1], 5, v9
	v_cmp_eq_u32_e64 s[2:3], 3, v9
	v_lshrrev_b32_e32 v6, 2, v6
	s_or_b64 s[0:1], s[2:3], s[0:1]
	v_addc_co_u32_e64 v6, s[0:1], 0, v6, s[0:1]
	v_cmp_gt_i32_e64 s[0:1], 31, v7
	v_lshrrev_b32_e32 v11, 16, v8
	v_cndmask_b32_e64 v9, v2, v6, s[0:1]
	v_mul_f16_sdwa v6, v59, v11 dst_sel:DWORD dst_unused:UNUSED_PAD src0_sel:WORD_1 src1_sel:DWORD
	v_fma_f16 v6, v59, v8, v6
	v_cvt_f32_f16_e32 v6, v6
	v_cmp_ne_u32_e64 s[0:1], 0, v5
	v_cndmask_b32_e64 v5, 0, 1, s[0:1]
	v_lshl_or_b32 v12, v5, 9, v2
	v_cvt_f64_f32_e32 v[5:6], v6
	v_cmp_eq_u32_e64 s[0:1], s11, v7
	v_cndmask_b32_e64 v7, v9, v12, s[0:1]
	v_lshrrev_b32_e32 v9, 16, v10
	v_mul_f64 v[5:6], v[5:6], s[12:13]
	v_and_or_b32 v7, v9, s14, v7
	v_and_b32_e32 v0, 0xffff, v0
	v_add_co_u32_e64 v9, s[0:1], s6, v3
	v_lshl_or_b32 v0, v7, 16, v0
	v_addc_co_u32_e64 v10, s[0:1], v4, v1, s[0:1]
	global_store_dword v[9:10], v0, off
	v_and_or_b32 v0, v6, s15, v5
	v_cmp_ne_u32_e64 s[0:1], 0, v0
	v_cndmask_b32_e64 v0, 0, 1, s[0:1]
	v_lshrrev_b32_e32 v3, 8, v6
	v_bfe_u32 v4, v6, 20, 11
	v_and_or_b32 v0, v3, s10, v0
	v_sub_u32_e32 v5, 0x3f1, v4
	v_or_b32_e32 v3, 0x1000, v0
	v_med3_i32 v5, v5, 0, 13
	v_lshrrev_b32_e32 v7, v5, v3
	v_lshlrev_b32_e32 v5, v5, v7
	v_cmp_ne_u32_e64 s[0:1], v5, v3
	v_cndmask_b32_e64 v3, 0, 1, s[0:1]
	v_or_b32_e32 v3, v7, v3
	v_mul_f16_sdwa v7, v59, v8 dst_sel:DWORD dst_unused:UNUSED_PAD src0_sel:WORD_1 src1_sel:DWORD
	v_fma_f16 v7, v59, v11, -v7
	v_add_u32_e32 v5, 0xfffffc10, v4
	v_cvt_f32_f16_e32 v7, v7
	v_lshl_or_b32 v4, v5, 12, v0
	v_cmp_gt_i32_e64 s[0:1], 1, v5
	v_cndmask_b32_e64 v3, v4, v3, s[0:1]
	v_and_b32_e32 v4, 7, v3
	v_cmp_lt_i32_e64 s[0:1], 5, v4
	v_cmp_eq_u32_e64 s[2:3], 3, v4
	v_lshrrev_b32_e32 v8, 2, v3
	v_cvt_f64_f32_e32 v[3:4], v7
	s_or_b64 s[0:1], s[2:3], s[0:1]
	v_addc_co_u32_e64 v7, s[0:1], 0, v8, s[0:1]
	v_mul_f64 v[3:4], v[3:4], s[12:13]
	v_cmp_gt_i32_e64 s[0:1], 31, v5
	v_cndmask_b32_e64 v7, v2, v7, s[0:1]
	v_cmp_ne_u32_e64 s[0:1], 0, v0
	v_cndmask_b32_e64 v0, 0, 1, s[0:1]
	v_lshl_or_b32 v0, v0, 9, v2
	v_cmp_eq_u32_e64 s[0:1], s11, v5
	v_cndmask_b32_e64 v0, v7, v0, s[0:1]
	v_and_or_b32 v3, v4, s15, v3
	v_lshrrev_b32_e32 v5, 16, v6
	v_cmp_ne_u32_e64 s[0:1], 0, v3
	v_and_or_b32 v0, v5, s14, v0
	v_cndmask_b32_e64 v3, 0, 1, s[0:1]
	v_lshrrev_b32_e32 v5, 8, v4
	v_and_or_b32 v7, v5, s10, v3
	v_bfe_u32 v5, v4, 20, 11
	v_sub_u32_e32 v6, 0x3f1, v5
	v_or_b32_e32 v3, 0x1000, v7
	v_med3_i32 v6, v6, 0, 13
	v_lshrrev_b32_e32 v8, v6, v3
	v_lshlrev_b32_e32 v6, v6, v8
	v_cmp_ne_u32_e64 s[0:1], v6, v3
	v_cndmask_b32_e64 v3, 0, 1, s[0:1]
	v_add_u32_e32 v11, 0xfffffc10, v5
	v_or_b32_e32 v3, v8, v3
	v_lshl_or_b32 v5, v11, 12, v7
	v_cmp_gt_i32_e64 s[0:1], 1, v11
	v_cndmask_b32_e64 v3, v5, v3, s[0:1]
	v_and_b32_e32 v5, 7, v3
	v_lshrrev_b32_e32 v8, 2, v3
	v_add_u32_e32 v3, 0x600, v53
	v_cmp_lt_i32_e64 s[0:1], 5, v5
	v_cmp_eq_u32_e64 s[2:3], 3, v5
	ds_read2_b32 v[5:6], v3 offset0:66 offset1:141
	s_or_b64 s[0:1], s[2:3], s[0:1]
	v_addc_co_u32_e64 v8, s[0:1], 0, v8, s[0:1]
	v_cmp_gt_i32_e64 s[0:1], 31, v11
	s_waitcnt lgkmcnt(0)
	v_lshrrev_b32_e32 v13, 16, v5
	v_cndmask_b32_e64 v12, v2, v8, s[0:1]
	v_mul_f16_sdwa v8, v58, v13 dst_sel:DWORD dst_unused:UNUSED_PAD src0_sel:WORD_1 src1_sel:DWORD
	v_fma_f16 v8, v58, v5, v8
	v_cvt_f32_f16_e32 v8, v8
	v_cmp_ne_u32_e64 s[0:1], 0, v7
	v_cndmask_b32_e64 v7, 0, 1, s[0:1]
	v_lshl_or_b32 v14, v7, 9, v2
	v_cvt_f64_f32_e32 v[7:8], v8
	v_cmp_eq_u32_e64 s[0:1], s11, v11
	v_cndmask_b32_e64 v11, v12, v14, s[0:1]
	v_lshrrev_b32_e32 v4, 16, v4
	v_mul_f64 v[7:8], v[7:8], s[12:13]
	v_and_or_b32 v4, v4, s14, v11
	v_and_b32_e32 v0, 0xffff, v0
	v_add_co_u32_e64 v9, s[0:1], s6, v9
	v_lshl_or_b32 v0, v4, 16, v0
	v_addc_co_u32_e64 v10, s[0:1], v10, v1, s[0:1]
	global_store_dword v[9:10], v0, off
	v_and_or_b32 v0, v8, s15, v7
	v_cmp_ne_u32_e64 s[0:1], 0, v0
	v_cndmask_b32_e64 v0, 0, 1, s[0:1]
	v_lshrrev_b32_e32 v4, 8, v8
	v_bfe_u32 v7, v8, 20, 11
	v_and_or_b32 v0, v4, s10, v0
	v_sub_u32_e32 v11, 0x3f1, v7
	v_or_b32_e32 v4, 0x1000, v0
	v_med3_i32 v11, v11, 0, 13
	v_lshrrev_b32_e32 v12, v11, v4
	v_lshlrev_b32_e32 v11, v11, v12
	v_mul_f16_sdwa v5, v58, v5 dst_sel:DWORD dst_unused:UNUSED_PAD src0_sel:WORD_1 src1_sel:DWORD
	v_cmp_ne_u32_e64 s[0:1], v11, v4
	v_fma_f16 v5, v58, v13, -v5
	v_cndmask_b32_e64 v4, 0, 1, s[0:1]
	v_add_u32_e32 v7, 0xfffffc10, v7
	v_cvt_f32_f16_e32 v5, v5
	v_or_b32_e32 v4, v12, v4
	v_lshl_or_b32 v11, v7, 12, v0
	v_cmp_gt_i32_e64 s[0:1], 1, v7
	v_cndmask_b32_e64 v4, v11, v4, s[0:1]
	v_and_b32_e32 v11, 7, v4
	v_cmp_lt_i32_e64 s[0:1], 5, v11
	v_cmp_eq_u32_e64 s[2:3], 3, v11
	v_lshrrev_b32_e32 v11, 2, v4
	v_cvt_f64_f32_e32 v[4:5], v5
	s_or_b64 s[0:1], s[2:3], s[0:1]
	v_addc_co_u32_e64 v11, s[0:1], 0, v11, s[0:1]
	v_mul_f64 v[4:5], v[4:5], s[12:13]
	v_cmp_gt_i32_e64 s[0:1], 31, v7
	v_cndmask_b32_e64 v11, v2, v11, s[0:1]
	v_cmp_ne_u32_e64 s[0:1], 0, v0
	v_cndmask_b32_e64 v0, 0, 1, s[0:1]
	v_lshl_or_b32 v0, v0, 9, v2
	v_cmp_eq_u32_e64 s[0:1], s11, v7
	v_cndmask_b32_e64 v0, v11, v0, s[0:1]
	v_and_or_b32 v4, v5, s15, v4
	v_lshrrev_b32_e32 v7, 16, v8
	v_cmp_ne_u32_e64 s[0:1], 0, v4
	v_and_or_b32 v0, v7, s14, v0
	v_cndmask_b32_e64 v4, 0, 1, s[0:1]
	v_lshrrev_b32_e32 v7, 8, v5
	v_bfe_u32 v8, v5, 20, 11
	v_and_or_b32 v4, v7, s10, v4
	v_sub_u32_e32 v11, 0x3f1, v8
	v_or_b32_e32 v7, 0x1000, v4
	v_med3_i32 v11, v11, 0, 13
	v_lshrrev_b32_e32 v12, v11, v7
	v_lshlrev_b32_e32 v11, v11, v12
	v_cmp_ne_u32_e64 s[0:1], v11, v7
	v_cndmask_b32_e64 v7, 0, 1, s[0:1]
	v_add_u32_e32 v11, 0xfffffc10, v8
	v_or_b32_e32 v7, v12, v7
	v_lshl_or_b32 v8, v11, 12, v4
	v_cmp_gt_i32_e64 s[0:1], 1, v11
	v_cndmask_b32_e64 v7, v8, v7, s[0:1]
	v_and_b32_e32 v8, 7, v7
	v_cmp_lt_i32_e64 s[0:1], 5, v8
	v_cmp_eq_u32_e64 s[2:3], 3, v8
	v_lshrrev_b32_e32 v7, 2, v7
	s_or_b64 s[0:1], s[2:3], s[0:1]
	v_addc_co_u32_e64 v7, s[0:1], 0, v7, s[0:1]
	v_cmp_gt_i32_e64 s[0:1], 31, v11
	v_lshrrev_b32_e32 v13, 16, v6
	v_cndmask_b32_e64 v12, v2, v7, s[0:1]
	v_mul_f16_sdwa v7, v57, v13 dst_sel:DWORD dst_unused:UNUSED_PAD src0_sel:WORD_1 src1_sel:DWORD
	v_fma_f16 v7, v57, v6, v7
	v_cvt_f32_f16_e32 v7, v7
	v_cmp_ne_u32_e64 s[0:1], 0, v4
	v_cndmask_b32_e64 v4, 0, 1, s[0:1]
	v_lshl_or_b32 v4, v4, 9, v2
	v_cvt_f64_f32_e32 v[7:8], v7
	v_cmp_eq_u32_e64 s[0:1], s11, v11
	v_cndmask_b32_e64 v4, v12, v4, s[0:1]
	v_lshrrev_b32_e32 v5, 16, v5
	v_and_or_b32 v11, v5, s14, v4
	v_mul_f64 v[4:5], v[7:8], s[12:13]
	v_and_b32_e32 v0, 0xffff, v0
	v_add_co_u32_e64 v7, s[0:1], s6, v9
	v_lshl_or_b32 v0, v11, 16, v0
	v_addc_co_u32_e64 v8, s[0:1], v10, v1, s[0:1]
	global_store_dword v[7:8], v0, off
	v_and_or_b32 v0, v5, s15, v4
	v_cmp_ne_u32_e64 s[0:1], 0, v0
	v_cndmask_b32_e64 v0, 0, 1, s[0:1]
	v_lshrrev_b32_e32 v4, 8, v5
	v_bfe_u32 v9, v5, 20, 11
	v_and_or_b32 v0, v4, s10, v0
	v_sub_u32_e32 v10, 0x3f1, v9
	v_or_b32_e32 v4, 0x1000, v0
	v_med3_i32 v10, v10, 0, 13
	v_lshrrev_b32_e32 v11, v10, v4
	v_lshlrev_b32_e32 v10, v10, v11
	v_cmp_ne_u32_e64 s[0:1], v10, v4
	v_mul_f16_sdwa v6, v57, v6 dst_sel:DWORD dst_unused:UNUSED_PAD src0_sel:WORD_1 src1_sel:DWORD
	v_cndmask_b32_e64 v4, 0, 1, s[0:1]
	v_fma_f16 v6, v57, v13, -v6
	v_or_b32_e32 v4, v11, v4
	v_add_u32_e32 v11, 0xfffffc10, v9
	v_cvt_f32_f16_e32 v6, v6
	v_lshl_or_b32 v9, v11, 12, v0
	v_cmp_gt_i32_e64 s[0:1], 1, v11
	v_cndmask_b32_e64 v4, v9, v4, s[0:1]
	v_and_b32_e32 v9, 7, v4
	v_cmp_lt_i32_e64 s[0:1], 5, v9
	v_cmp_eq_u32_e64 s[2:3], 3, v9
	v_cvt_f64_f32_e32 v[9:10], v6
	v_lshrrev_b32_e32 v4, 2, v4
	s_or_b64 s[0:1], s[2:3], s[0:1]
	v_addc_co_u32_e64 v4, s[0:1], 0, v4, s[0:1]
	v_mul_f64 v[9:10], v[9:10], s[12:13]
	v_cmp_gt_i32_e64 s[0:1], 31, v11
	v_cndmask_b32_e64 v4, v2, v4, s[0:1]
	v_cmp_ne_u32_e64 s[0:1], 0, v0
	v_cndmask_b32_e64 v0, 0, 1, s[0:1]
	v_lshl_or_b32 v0, v0, 9, v2
	v_cmp_eq_u32_e64 s[0:1], s11, v11
	v_cndmask_b32_e64 v0, v4, v0, s[0:1]
	v_lshrrev_b32_e32 v4, 16, v5
	v_and_or_b32 v0, v4, s14, v0
	v_and_or_b32 v4, v10, s15, v9
	v_cmp_ne_u32_e64 s[0:1], 0, v4
	v_cndmask_b32_e64 v4, 0, 1, s[0:1]
	v_lshrrev_b32_e32 v5, 8, v10
	v_and_or_b32 v6, v5, s10, v4
	v_bfe_u32 v5, v10, 20, 11
	v_sub_u32_e32 v9, 0x3f1, v5
	v_or_b32_e32 v4, 0x1000, v6
	v_med3_i32 v9, v9, 0, 13
	v_lshrrev_b32_e32 v11, v9, v4
	v_lshlrev_b32_e32 v9, v9, v11
	v_cmp_ne_u32_e64 s[0:1], v9, v4
	v_cndmask_b32_e64 v4, 0, 1, s[0:1]
	v_add_u32_e32 v9, 0xfffffc10, v5
	v_or_b32_e32 v4, v11, v4
	v_lshl_or_b32 v5, v9, 12, v6
	v_cmp_gt_i32_e64 s[0:1], 1, v9
	v_cndmask_b32_e64 v4, v5, v4, s[0:1]
	v_and_b32_e32 v5, 7, v4
	v_cmp_lt_i32_e64 s[0:1], 5, v5
	v_cmp_eq_u32_e64 s[2:3], 3, v5
	v_lshrrev_b32_e32 v11, 2, v4
	ds_read2_b32 v[4:5], v23 offset0:88 offset1:163
	s_or_b64 s[0:1], s[2:3], s[0:1]
	v_addc_co_u32_e64 v11, s[0:1], 0, v11, s[0:1]
	v_cmp_gt_i32_e64 s[0:1], 31, v9
	s_waitcnt lgkmcnt(0)
	v_lshrrev_b32_e32 v14, 16, v4
	v_cndmask_b32_e64 v13, v2, v11, s[0:1]
	v_mul_f16_sdwa v11, v56, v14 dst_sel:DWORD dst_unused:UNUSED_PAD src0_sel:WORD_1 src1_sel:DWORD
	v_fma_f16 v11, v56, v4, v11
	v_cvt_f32_f16_e32 v11, v11
	v_cmp_ne_u32_e64 s[0:1], 0, v6
	v_cndmask_b32_e64 v6, 0, 1, s[0:1]
	v_lshl_or_b32 v6, v6, 9, v2
	v_cvt_f64_f32_e32 v[11:12], v11
	v_cmp_eq_u32_e64 s[0:1], s11, v9
	v_cndmask_b32_e64 v6, v13, v6, s[0:1]
	v_lshrrev_b32_e32 v9, 16, v10
	v_and_or_b32 v6, v9, s14, v6
	v_mul_f64 v[9:10], v[11:12], s[12:13]
	v_and_b32_e32 v0, 0xffff, v0
	v_lshl_or_b32 v0, v6, 16, v0
	v_add_co_u32_e64 v6, s[0:1], s6, v7
	v_addc_co_u32_e64 v7, s[0:1], v8, v1, s[0:1]
	global_store_dword v[6:7], v0, off
	v_and_or_b32 v0, v10, s15, v9
	v_cmp_ne_u32_e64 s[0:1], 0, v0
	v_cndmask_b32_e64 v0, 0, 1, s[0:1]
	v_lshrrev_b32_e32 v8, 8, v10
	v_bfe_u32 v9, v10, 20, 11
	v_and_or_b32 v0, v8, s10, v0
	v_sub_u32_e32 v11, 0x3f1, v9
	v_or_b32_e32 v8, 0x1000, v0
	v_med3_i32 v11, v11, 0, 13
	v_lshrrev_b32_e32 v12, v11, v8
	v_lshlrev_b32_e32 v11, v11, v12
	v_mul_f16_sdwa v4, v56, v4 dst_sel:DWORD dst_unused:UNUSED_PAD src0_sel:WORD_1 src1_sel:DWORD
	v_cmp_ne_u32_e64 s[0:1], v11, v8
	v_fma_f16 v4, v56, v14, -v4
	v_cndmask_b32_e64 v8, 0, 1, s[0:1]
	v_add_u32_e32 v11, 0xfffffc10, v9
	v_cvt_f32_f16_e32 v4, v4
	v_or_b32_e32 v8, v12, v8
	v_lshl_or_b32 v9, v11, 12, v0
	v_cmp_gt_i32_e64 s[0:1], 1, v11
	v_cndmask_b32_e64 v8, v9, v8, s[0:1]
	v_and_b32_e32 v9, 7, v8
	v_cmp_lt_i32_e64 s[0:1], 5, v9
	v_cmp_eq_u32_e64 s[2:3], 3, v9
	v_lshrrev_b32_e32 v12, 2, v8
	v_cvt_f64_f32_e32 v[8:9], v4
	s_or_b64 s[0:1], s[2:3], s[0:1]
	v_addc_co_u32_e64 v4, s[0:1], 0, v12, s[0:1]
	v_mul_f64 v[8:9], v[8:9], s[12:13]
	v_cmp_gt_i32_e64 s[0:1], 31, v11
	v_cndmask_b32_e64 v4, v2, v4, s[0:1]
	v_cmp_ne_u32_e64 s[0:1], 0, v0
	v_cndmask_b32_e64 v0, 0, 1, s[0:1]
	v_lshl_or_b32 v0, v0, 9, v2
	v_cmp_eq_u32_e64 s[0:1], s11, v11
	v_cndmask_b32_e64 v0, v4, v0, s[0:1]
	v_lshrrev_b32_e32 v4, 16, v10
	v_and_or_b32 v0, v4, s14, v0
	v_and_or_b32 v4, v9, s15, v8
	v_cmp_ne_u32_e64 s[0:1], 0, v4
	v_cndmask_b32_e64 v4, 0, 1, s[0:1]
	v_lshrrev_b32_e32 v8, 8, v9
	v_bfe_u32 v10, v9, 20, 11
	v_and_or_b32 v4, v8, s10, v4
	v_sub_u32_e32 v11, 0x3f1, v10
	v_or_b32_e32 v8, 0x1000, v4
	v_med3_i32 v11, v11, 0, 13
	v_lshrrev_b32_e32 v12, v11, v8
	v_lshlrev_b32_e32 v11, v11, v12
	v_cmp_ne_u32_e64 s[0:1], v11, v8
	v_cndmask_b32_e64 v8, 0, 1, s[0:1]
	v_or_b32_e32 v8, v12, v8
	v_add_u32_e32 v12, 0xfffffc10, v10
	v_lshl_or_b32 v10, v12, 12, v4
	v_cmp_gt_i32_e64 s[0:1], 1, v12
	v_cndmask_b32_e64 v8, v10, v8, s[0:1]
	v_and_b32_e32 v10, 7, v8
	v_lshrrev_b32_e32 v13, 16, v5
	v_cmp_lt_i32_e64 s[0:1], 5, v10
	v_cmp_eq_u32_e64 s[2:3], 3, v10
	v_mul_f16_sdwa v10, v55, v13 dst_sel:DWORD dst_unused:UNUSED_PAD src0_sel:WORD_1 src1_sel:DWORD
	v_fma_f16 v10, v55, v5, v10
	v_cvt_f32_f16_e32 v10, v10
	v_lshrrev_b32_e32 v8, 2, v8
	s_or_b64 s[0:1], s[2:3], s[0:1]
	v_addc_co_u32_e64 v8, s[0:1], 0, v8, s[0:1]
	v_cmp_gt_i32_e64 s[0:1], 31, v12
	v_cndmask_b32_e64 v8, v2, v8, s[0:1]
	v_cmp_ne_u32_e64 s[0:1], 0, v4
	v_cvt_f64_f32_e32 v[10:11], v10
	v_cndmask_b32_e64 v4, 0, 1, s[0:1]
	v_lshl_or_b32 v4, v4, 9, v2
	v_cmp_eq_u32_e64 s[0:1], s11, v12
	v_cndmask_b32_e64 v4, v8, v4, s[0:1]
	v_lshrrev_b32_e32 v8, 16, v9
	v_and_or_b32 v4, v8, s14, v4
	v_mul_f64 v[8:9], v[10:11], s[12:13]
	v_and_b32_e32 v0, 0xffff, v0
	v_add_co_u32_e64 v6, s[0:1], s6, v6
	v_lshl_or_b32 v0, v4, 16, v0
	v_addc_co_u32_e64 v7, s[0:1], v7, v1, s[0:1]
	global_store_dword v[6:7], v0, off
	v_and_or_b32 v0, v9, s15, v8
	v_cmp_ne_u32_e64 s[0:1], 0, v0
	v_cndmask_b32_e64 v0, 0, 1, s[0:1]
	v_lshrrev_b32_e32 v4, 8, v9
	v_bfe_u32 v8, v9, 20, 11
	v_and_or_b32 v0, v4, s10, v0
	v_sub_u32_e32 v10, 0x3f1, v8
	v_or_b32_e32 v4, 0x1000, v0
	v_med3_i32 v10, v10, 0, 13
	v_lshrrev_b32_e32 v11, v10, v4
	v_lshlrev_b32_e32 v10, v10, v11
	v_mul_f16_sdwa v5, v55, v5 dst_sel:DWORD dst_unused:UNUSED_PAD src0_sel:WORD_1 src1_sel:DWORD
	v_cmp_ne_u32_e64 s[0:1], v10, v4
	v_fma_f16 v5, v55, v13, -v5
	v_cndmask_b32_e64 v4, 0, 1, s[0:1]
	v_add_u32_e32 v8, 0xfffffc10, v8
	v_cvt_f32_f16_e32 v5, v5
	v_or_b32_e32 v4, v11, v4
	v_lshl_or_b32 v10, v8, 12, v0
	v_cmp_gt_i32_e64 s[0:1], 1, v8
	v_cndmask_b32_e64 v4, v10, v4, s[0:1]
	v_and_b32_e32 v10, 7, v4
	v_cmp_lt_i32_e64 s[0:1], 5, v10
	v_cmp_eq_u32_e64 s[2:3], 3, v10
	v_lshrrev_b32_e32 v10, 2, v4
	v_cvt_f64_f32_e32 v[4:5], v5
	s_or_b64 s[0:1], s[2:3], s[0:1]
	v_addc_co_u32_e64 v10, s[0:1], 0, v10, s[0:1]
	v_mul_f64 v[4:5], v[4:5], s[12:13]
	v_cmp_gt_i32_e64 s[0:1], 31, v8
	v_cndmask_b32_e64 v10, v2, v10, s[0:1]
	v_cmp_ne_u32_e64 s[0:1], 0, v0
	v_cndmask_b32_e64 v0, 0, 1, s[0:1]
	v_lshl_or_b32 v0, v0, 9, v2
	v_cmp_eq_u32_e64 s[0:1], s11, v8
	v_cndmask_b32_e64 v0, v10, v0, s[0:1]
	v_and_or_b32 v4, v5, s15, v4
	v_lshrrev_b32_e32 v8, 16, v9
	v_cmp_ne_u32_e64 s[0:1], 0, v4
	v_and_or_b32 v0, v8, s14, v0
	v_cndmask_b32_e64 v4, 0, 1, s[0:1]
	v_lshrrev_b32_e32 v8, 8, v5
	v_bfe_u32 v9, v5, 20, 11
	v_and_or_b32 v4, v8, s10, v4
	v_sub_u32_e32 v10, 0x3f1, v9
	v_or_b32_e32 v8, 0x1000, v4
	v_med3_i32 v10, v10, 0, 13
	v_lshrrev_b32_e32 v11, v10, v8
	v_lshlrev_b32_e32 v10, v10, v11
	v_cmp_ne_u32_e64 s[0:1], v10, v8
	v_cndmask_b32_e64 v8, 0, 1, s[0:1]
	v_add_u32_e32 v10, 0xfffffc10, v9
	v_or_b32_e32 v8, v11, v8
	v_lshl_or_b32 v9, v10, 12, v4
	v_cmp_gt_i32_e64 s[0:1], 1, v10
	v_cndmask_b32_e64 v8, v9, v8, s[0:1]
	ds_read_b32 v11, v53 offset:3000
	v_and_b32_e32 v9, 7, v8
	v_cmp_lt_i32_e64 s[0:1], 5, v9
	v_cmp_eq_u32_e64 s[2:3], 3, v9
	v_lshrrev_b32_e32 v8, 2, v8
	s_or_b64 s[0:1], s[2:3], s[0:1]
	v_addc_co_u32_e64 v8, s[0:1], 0, v8, s[0:1]
	v_cmp_gt_i32_e64 s[0:1], 31, v10
	s_waitcnt lgkmcnt(0)
	v_lshrrev_b32_e32 v13, 16, v11
	v_cndmask_b32_e64 v12, v2, v8, s[0:1]
	v_mul_f16_sdwa v8, v54, v13 dst_sel:DWORD dst_unused:UNUSED_PAD src0_sel:WORD_1 src1_sel:DWORD
	v_fma_f16 v8, v54, v11, v8
	v_cvt_f32_f16_e32 v8, v8
	v_cmp_ne_u32_e64 s[0:1], 0, v4
	v_cndmask_b32_e64 v4, 0, 1, s[0:1]
	v_lshl_or_b32 v4, v4, 9, v2
	v_cvt_f64_f32_e32 v[8:9], v8
	v_cmp_eq_u32_e64 s[0:1], s11, v10
	v_cndmask_b32_e64 v4, v12, v4, s[0:1]
	v_lshrrev_b32_e32 v5, 16, v5
	v_and_or_b32 v10, v5, s14, v4
	v_mul_f64 v[4:5], v[8:9], s[12:13]
	v_and_b32_e32 v0, 0xffff, v0
	v_add_co_u32_e64 v6, s[0:1], s6, v6
	v_lshl_or_b32 v0, v10, 16, v0
	v_addc_co_u32_e64 v7, s[0:1], v7, v1, s[0:1]
	global_store_dword v[6:7], v0, off
	v_and_or_b32 v0, v5, s15, v4
	v_cmp_ne_u32_e64 s[0:1], 0, v0
	v_cndmask_b32_e64 v0, 0, 1, s[0:1]
	v_lshrrev_b32_e32 v4, 8, v5
	v_bfe_u32 v8, v5, 20, 11
	v_and_or_b32 v0, v4, s10, v0
	v_sub_u32_e32 v9, 0x3f1, v8
	v_or_b32_e32 v4, 0x1000, v0
	v_med3_i32 v9, v9, 0, 13
	v_lshrrev_b32_e32 v10, v9, v4
	v_lshlrev_b32_e32 v9, v9, v10
	v_cmp_ne_u32_e64 s[0:1], v9, v4
	v_mul_f16_sdwa v9, v54, v11 dst_sel:DWORD dst_unused:UNUSED_PAD src0_sel:WORD_1 src1_sel:DWORD
	v_cndmask_b32_e64 v4, 0, 1, s[0:1]
	v_fma_f16 v9, v54, v13, -v9
	v_or_b32_e32 v4, v10, v4
	v_add_u32_e32 v10, 0xfffffc10, v8
	v_cvt_f32_f16_e32 v9, v9
	v_lshl_or_b32 v8, v10, 12, v0
	v_cmp_gt_i32_e64 s[0:1], 1, v10
	v_cndmask_b32_e64 v4, v8, v4, s[0:1]
	v_and_b32_e32 v8, 7, v4
	v_cmp_lt_i32_e64 s[0:1], 5, v8
	v_cmp_eq_u32_e64 s[2:3], 3, v8
	v_cvt_f64_f32_e32 v[8:9], v9
	v_lshrrev_b32_e32 v4, 2, v4
	s_or_b64 s[0:1], s[2:3], s[0:1]
	v_addc_co_u32_e64 v4, s[0:1], 0, v4, s[0:1]
	v_mul_f64 v[8:9], v[8:9], s[12:13]
	v_cmp_gt_i32_e64 s[0:1], 31, v10
	v_cndmask_b32_e64 v4, v2, v4, s[0:1]
	v_cmp_ne_u32_e64 s[0:1], 0, v0
	v_cndmask_b32_e64 v0, 0, 1, s[0:1]
	v_lshl_or_b32 v0, v0, 9, v2
	v_cmp_eq_u32_e64 s[0:1], s11, v10
	v_cndmask_b32_e64 v0, v4, v0, s[0:1]
	v_lshrrev_b32_e32 v4, 16, v5
	v_and_or_b32 v0, v4, s14, v0
	v_and_or_b32 v4, v9, s15, v8
	v_cmp_ne_u32_e64 s[0:1], 0, v4
	v_cndmask_b32_e64 v4, 0, 1, s[0:1]
	v_lshrrev_b32_e32 v5, 8, v9
	v_bfe_u32 v8, v9, 20, 11
	v_and_or_b32 v4, v5, s10, v4
	v_sub_u32_e32 v10, 0x3f1, v8
	v_or_b32_e32 v5, 0x1000, v4
	v_med3_i32 v10, v10, 0, 13
	v_lshrrev_b32_e32 v11, v10, v5
	v_lshlrev_b32_e32 v10, v10, v11
	v_cmp_ne_u32_e64 s[0:1], v10, v5
	v_cndmask_b32_e64 v5, 0, 1, s[0:1]
	v_add_u32_e32 v8, 0xfffffc10, v8
	v_or_b32_e32 v5, v11, v5
	v_lshl_or_b32 v10, v8, 12, v4
	v_cmp_gt_i32_e64 s[0:1], 1, v8
	v_cndmask_b32_e64 v5, v10, v5, s[0:1]
	v_and_b32_e32 v10, 7, v5
	v_cmp_lt_i32_e64 s[0:1], 5, v10
	v_cmp_eq_u32_e64 s[2:3], 3, v10
	v_lshrrev_b32_e32 v5, 2, v5
	s_or_b64 s[0:1], s[2:3], s[0:1]
	v_addc_co_u32_e64 v5, s[0:1], 0, v5, s[0:1]
	v_cmp_gt_i32_e64 s[0:1], 31, v8
	v_cndmask_b32_e64 v5, v2, v5, s[0:1]
	v_cmp_ne_u32_e64 s[0:1], 0, v4
	v_cndmask_b32_e64 v4, 0, 1, s[0:1]
	v_lshl_or_b32 v4, v4, 9, v2
	v_cmp_eq_u32_e64 s[0:1], s11, v8
	v_cndmask_b32_e64 v4, v5, v4, s[0:1]
	v_lshrrev_b32_e32 v5, 16, v9
	v_and_or_b32 v4, v5, s14, v4
	v_and_b32_e32 v0, 0xffff, v0
	v_lshl_or_b32 v4, v4, 16, v0
	v_add_co_u32_e64 v0, s[0:1], s6, v6
	v_addc_co_u32_e64 v1, s[0:1], v7, v1, s[0:1]
	global_store_dword v[0:1], v4, off
	s_and_b64 exec, exec, vcc
	s_cbranch_execz .LBB0_15
; %bb.14:
	global_load_dword v6, v[20:21], off offset:220
	ds_read2_b32 v[4:5], v53 offset0:55 offset1:130
	s_waitcnt lgkmcnt(0)
	v_lshrrev_b32_e32 v7, 16, v4
	s_waitcnt vmcnt(0)
	v_mul_f16_sdwa v8, v7, v6 dst_sel:DWORD dst_unused:UNUSED_PAD src0_sel:DWORD src1_sel:WORD_1
	v_fma_f16 v8, v4, v6, v8
	v_mul_f16_sdwa v4, v4, v6 dst_sel:DWORD dst_unused:UNUSED_PAD src0_sel:DWORD src1_sel:WORD_1
	v_cvt_f32_f16_e32 v8, v8
	v_fma_f16 v4, v6, v7, -v4
	v_cvt_f32_f16_e32 v4, v4
	v_cvt_f64_f32_e32 v[6:7], v8
	v_cvt_f64_f32_e32 v[8:9], v4
	v_mov_b32_e32 v4, 0xfffff524
	v_mul_f64 v[6:7], v[6:7], s[12:13]
	v_mad_u64_u32 v[10:11], s[0:1], s8, v4, v[0:1]
	v_mul_f64 v[0:1], v[8:9], s[12:13]
	s_mul_i32 s0, s9, 0xfffff524
	s_sub_i32 s0, s0, s8
	v_add_u32_e32 v11, s0, v11
	v_and_or_b32 v4, v7, s15, v6
	v_cmp_ne_u32_e32 vcc, 0, v4
	v_lshrrev_b32_e32 v6, 8, v7
	v_and_or_b32 v0, v1, s15, v0
	v_bfe_u32 v8, v7, 20, 11
	v_cndmask_b32_e64 v4, 0, 1, vcc
	v_cmp_ne_u32_e32 vcc, 0, v0
	v_lshrrev_b32_e32 v9, 8, v1
	v_bfe_u32 v12, v1, 20, 11
	v_sub_u32_e32 v13, 0x3f1, v8
	v_cndmask_b32_e64 v0, 0, 1, vcc
	v_and_or_b32 v4, v6, s10, v4
	v_sub_u32_e32 v14, 0x3f1, v12
	v_med3_i32 v6, v13, 0, 13
	v_and_or_b32 v0, v9, s10, v0
	v_or_b32_e32 v13, 0x1000, v4
	v_add_u32_e32 v8, 0xfffffc10, v8
	v_med3_i32 v9, v14, 0, 13
	v_cmp_ne_u32_e32 vcc, 0, v4
	v_or_b32_e32 v15, 0x1000, v0
	v_lshrrev_b32_e32 v17, v6, v13
	v_add_u32_e32 v12, 0xfffffc10, v12
	v_lshl_or_b32 v14, v8, 12, v4
	v_cndmask_b32_e64 v4, 0, 1, vcc
	v_cmp_ne_u32_e32 vcc, 0, v0
	v_lshrrev_b32_e32 v18, v9, v15
	v_lshlrev_b32_e32 v6, v6, v17
	v_lshl_or_b32 v16, v12, 12, v0
	v_cndmask_b32_e64 v0, 0, 1, vcc
	v_lshlrev_b32_e32 v9, v9, v18
	v_cmp_ne_u32_e32 vcc, v6, v13
	v_cndmask_b32_e64 v6, 0, 1, vcc
	v_cmp_ne_u32_e32 vcc, v9, v15
	v_cndmask_b32_e64 v9, 0, 1, vcc
	v_or_b32_e32 v6, v17, v6
	v_cmp_gt_i32_e32 vcc, 1, v8
	v_cndmask_b32_e32 v6, v14, v6, vcc
	v_or_b32_e32 v9, v18, v9
	v_cmp_gt_i32_e32 vcc, 1, v12
	v_and_b32_e32 v13, 7, v6
	v_cndmask_b32_e32 v9, v16, v9, vcc
	v_cmp_lt_i32_e32 vcc, 5, v13
	v_cmp_eq_u32_e64 s[0:1], 3, v13
	v_lshrrev_b32_e32 v6, 2, v6
	v_and_b32_e32 v14, 7, v9
	s_or_b64 vcc, s[0:1], vcc
	v_cmp_lt_i32_e64 s[2:3], 5, v14
	v_cmp_eq_u32_e64 s[4:5], 3, v14
	v_addc_co_u32_e32 v6, vcc, 0, v6, vcc
	v_lshrrev_b32_e32 v9, 2, v9
	s_or_b64 vcc, s[4:5], s[2:3]
	v_addc_co_u32_e32 v9, vcc, 0, v9, vcc
	v_cmp_gt_i32_e32 vcc, 31, v8
	v_cndmask_b32_e32 v6, v2, v6, vcc
	v_cmp_gt_i32_e32 vcc, 31, v12
	v_lshl_or_b32 v4, v4, 9, v2
	v_cndmask_b32_e32 v9, v2, v9, vcc
	v_cmp_eq_u32_e32 vcc, s11, v8
	v_lshrrev_b32_e32 v7, 16, v7
	v_lshl_or_b32 v0, v0, 9, v2
	v_cndmask_b32_e32 v4, v6, v4, vcc
	v_cmp_eq_u32_e32 vcc, s11, v12
	v_lshrrev_b32_e32 v1, 16, v1
	v_cndmask_b32_e32 v0, v9, v0, vcc
	v_and_or_b32 v4, v7, s14, v4
	v_and_or_b32 v0, v1, s14, v0
	v_and_b32_e32 v1, 0xffff, v4
	v_lshl_or_b32 v0, v0, 16, v1
	global_store_dword v[10:11], v0, off
	global_load_dword v0, v[20:21], off offset:520
	v_lshrrev_b32_e32 v1, 16, v5
	v_add_co_u32_e32 v8, vcc, s6, v10
	s_waitcnt vmcnt(0)
	v_mul_f16_sdwa v4, v1, v0 dst_sel:DWORD dst_unused:UNUSED_PAD src0_sel:DWORD src1_sel:WORD_1
	v_fma_f16 v4, v5, v0, v4
	v_mul_f16_sdwa v5, v5, v0 dst_sel:DWORD dst_unused:UNUSED_PAD src0_sel:DWORD src1_sel:WORD_1
	v_cvt_f32_f16_e32 v4, v4
	v_fma_f16 v0, v0, v1, -v5
	v_cvt_f32_f16_e32 v5, v0
	v_cvt_f64_f32_e32 v[0:1], v4
	v_cvt_f64_f32_e32 v[4:5], v5
	v_mul_f64 v[6:7], v[0:1], s[12:13]
	v_mov_b32_e32 v0, s7
	v_mul_f64 v[4:5], v[4:5], s[12:13]
	v_addc_co_u32_e32 v9, vcc, v11, v0, vcc
	v_and_or_b32 v1, v7, s15, v6
	v_cmp_ne_u32_e32 vcc, 0, v1
	v_and_or_b32 v4, v5, s15, v4
	v_lshrrev_b32_e32 v6, 8, v7
	v_bfe_u32 v10, v7, 20, 11
	v_cndmask_b32_e64 v1, 0, 1, vcc
	v_cmp_ne_u32_e32 vcc, 0, v4
	v_lshrrev_b32_e32 v11, 8, v5
	v_bfe_u32 v12, v5, 20, 11
	v_sub_u32_e32 v13, 0x3f1, v10
	v_cndmask_b32_e64 v4, 0, 1, vcc
	v_and_or_b32 v1, v6, s10, v1
	v_sub_u32_e32 v14, 0x3f1, v12
	v_med3_i32 v6, v13, 0, 13
	v_and_or_b32 v4, v11, s10, v4
	v_or_b32_e32 v13, 0x1000, v1
	v_add_u32_e32 v10, 0xfffffc10, v10
	v_med3_i32 v11, v14, 0, 13
	v_cmp_ne_u32_e32 vcc, 0, v1
	v_or_b32_e32 v15, 0x1000, v4
	v_lshrrev_b32_e32 v17, v6, v13
	v_add_u32_e32 v12, 0xfffffc10, v12
	v_lshl_or_b32 v14, v10, 12, v1
	v_cndmask_b32_e64 v1, 0, 1, vcc
	v_cmp_ne_u32_e32 vcc, 0, v4
	v_lshrrev_b32_e32 v18, v11, v15
	v_lshlrev_b32_e32 v6, v6, v17
	v_lshl_or_b32 v16, v12, 12, v4
	v_cndmask_b32_e64 v4, 0, 1, vcc
	v_lshlrev_b32_e32 v11, v11, v18
	v_cmp_ne_u32_e32 vcc, v6, v13
	v_cndmask_b32_e64 v6, 0, 1, vcc
	v_cmp_ne_u32_e32 vcc, v11, v15
	v_cndmask_b32_e64 v11, 0, 1, vcc
	v_or_b32_e32 v6, v17, v6
	v_cmp_gt_i32_e32 vcc, 1, v10
	v_cndmask_b32_e32 v6, v14, v6, vcc
	v_or_b32_e32 v11, v18, v11
	v_cmp_gt_i32_e32 vcc, 1, v12
	v_and_b32_e32 v13, 7, v6
	v_cndmask_b32_e32 v11, v16, v11, vcc
	v_cmp_lt_i32_e32 vcc, 5, v13
	v_cmp_eq_u32_e64 s[0:1], 3, v13
	v_lshrrev_b32_e32 v6, 2, v6
	v_and_b32_e32 v14, 7, v11
	s_or_b64 vcc, s[0:1], vcc
	v_cmp_lt_i32_e64 s[2:3], 5, v14
	v_cmp_eq_u32_e64 s[4:5], 3, v14
	v_addc_co_u32_e32 v6, vcc, 0, v6, vcc
	v_lshrrev_b32_e32 v11, 2, v11
	s_or_b64 vcc, s[4:5], s[2:3]
	v_addc_co_u32_e32 v11, vcc, 0, v11, vcc
	v_cmp_gt_i32_e32 vcc, 31, v10
	v_cndmask_b32_e32 v6, v2, v6, vcc
	v_cmp_gt_i32_e32 vcc, 31, v12
	v_lshl_or_b32 v1, v1, 9, v2
	v_cndmask_b32_e32 v11, v2, v11, vcc
	v_cmp_eq_u32_e32 vcc, s11, v10
	v_lshrrev_b32_e32 v7, 16, v7
	v_lshl_or_b32 v4, v4, 9, v2
	v_cndmask_b32_e32 v1, v6, v1, vcc
	v_cmp_eq_u32_e32 vcc, s11, v12
	v_lshrrev_b32_e32 v5, 16, v5
	v_cndmask_b32_e32 v4, v11, v4, vcc
	v_and_or_b32 v1, v7, s14, v1
	v_and_or_b32 v4, v5, s14, v4
	v_and_b32_e32 v1, 0xffff, v1
	v_lshl_or_b32 v1, v4, 16, v1
	global_store_dword v[8:9], v1, off
	global_load_dword v1, v[20:21], off offset:820
	ds_read2_b32 v[4:5], v25 offset0:77 offset1:152
	v_add_co_u32_e32 v8, vcc, s6, v8
	v_addc_co_u32_e32 v9, vcc, v9, v0, vcc
	s_waitcnt lgkmcnt(0)
	v_lshrrev_b32_e32 v6, 16, v4
	s_waitcnt vmcnt(0)
	v_mul_f16_sdwa v7, v6, v1 dst_sel:DWORD dst_unused:UNUSED_PAD src0_sel:DWORD src1_sel:WORD_1
	v_fma_f16 v7, v4, v1, v7
	v_mul_f16_sdwa v4, v4, v1 dst_sel:DWORD dst_unused:UNUSED_PAD src0_sel:DWORD src1_sel:WORD_1
	v_cvt_f32_f16_e32 v7, v7
	v_fma_f16 v1, v1, v6, -v4
	v_cvt_f32_f16_e32 v1, v1
	v_cvt_f64_f32_e32 v[6:7], v7
	v_cvt_f64_f32_e32 v[10:11], v1
	v_mul_f64 v[6:7], v[6:7], s[12:13]
	v_mul_f64 v[10:11], v[10:11], s[12:13]
	v_and_or_b32 v1, v7, s15, v6
	v_cmp_ne_u32_e32 vcc, 0, v1
	v_and_or_b32 v10, v11, s15, v10
	v_lshrrev_b32_e32 v4, 8, v7
	v_bfe_u32 v6, v7, 20, 11
	v_cndmask_b32_e64 v1, 0, 1, vcc
	v_cmp_ne_u32_e32 vcc, 0, v10
	v_lshrrev_b32_e32 v12, 8, v11
	v_bfe_u32 v13, v11, 20, 11
	v_sub_u32_e32 v14, 0x3f1, v6
	v_cndmask_b32_e64 v10, 0, 1, vcc
	v_and_or_b32 v1, v4, s10, v1
	v_sub_u32_e32 v15, 0x3f1, v13
	v_med3_i32 v4, v14, 0, 13
	v_and_or_b32 v10, v12, s10, v10
	v_or_b32_e32 v14, 0x1000, v1
	v_add_u32_e32 v6, 0xfffffc10, v6
	v_med3_i32 v12, v15, 0, 13
	v_cmp_ne_u32_e32 vcc, 0, v1
	v_or_b32_e32 v16, 0x1000, v10
	v_lshrrev_b32_e32 v18, v4, v14
	v_add_u32_e32 v13, 0xfffffc10, v13
	v_lshl_or_b32 v15, v6, 12, v1
	v_cndmask_b32_e64 v1, 0, 1, vcc
	v_cmp_ne_u32_e32 vcc, 0, v10
	v_lshrrev_b32_e32 v19, v12, v16
	v_lshlrev_b32_e32 v4, v4, v18
	v_lshl_or_b32 v17, v13, 12, v10
	v_cndmask_b32_e64 v10, 0, 1, vcc
	v_lshlrev_b32_e32 v12, v12, v19
	v_cmp_ne_u32_e32 vcc, v4, v14
	v_cndmask_b32_e64 v4, 0, 1, vcc
	v_cmp_ne_u32_e32 vcc, v12, v16
	v_cndmask_b32_e64 v12, 0, 1, vcc
	v_or_b32_e32 v4, v18, v4
	v_cmp_gt_i32_e32 vcc, 1, v6
	v_cndmask_b32_e32 v4, v15, v4, vcc
	v_or_b32_e32 v12, v19, v12
	v_cmp_gt_i32_e32 vcc, 1, v13
	v_and_b32_e32 v14, 7, v4
	v_cndmask_b32_e32 v12, v17, v12, vcc
	v_cmp_lt_i32_e32 vcc, 5, v14
	v_cmp_eq_u32_e64 s[0:1], 3, v14
	v_lshrrev_b32_e32 v4, 2, v4
	v_and_b32_e32 v15, 7, v12
	s_or_b64 vcc, s[0:1], vcc
	v_cmp_lt_i32_e64 s[2:3], 5, v15
	v_cmp_eq_u32_e64 s[4:5], 3, v15
	v_addc_co_u32_e32 v4, vcc, 0, v4, vcc
	v_lshrrev_b32_e32 v12, 2, v12
	s_or_b64 vcc, s[4:5], s[2:3]
	v_addc_co_u32_e32 v12, vcc, 0, v12, vcc
	v_cmp_gt_i32_e32 vcc, 31, v6
	v_cndmask_b32_e32 v4, v2, v4, vcc
	v_cmp_gt_i32_e32 vcc, 31, v13
	v_lshl_or_b32 v1, v1, 9, v2
	v_cndmask_b32_e32 v12, v2, v12, vcc
	v_cmp_eq_u32_e32 vcc, s11, v6
	v_lshrrev_b32_e32 v7, 16, v7
	v_lshl_or_b32 v10, v10, 9, v2
	v_cndmask_b32_e32 v1, v4, v1, vcc
	v_cmp_eq_u32_e32 vcc, s11, v13
	v_lshrrev_b32_e32 v11, 16, v11
	v_cndmask_b32_e32 v4, v12, v10, vcc
	v_and_or_b32 v1, v7, s14, v1
	v_and_or_b32 v4, v11, s14, v4
	v_and_b32_e32 v1, 0xffff, v1
	v_lshl_or_b32 v1, v4, 16, v1
	global_store_dword v[8:9], v1, off
	global_load_dword v1, v[20:21], off offset:1120
	v_lshrrev_b32_e32 v4, 16, v5
	v_add_co_u32_e32 v8, vcc, s6, v8
	v_addc_co_u32_e32 v9, vcc, v9, v0, vcc
	s_waitcnt vmcnt(0)
	v_mul_f16_sdwa v6, v4, v1 dst_sel:DWORD dst_unused:UNUSED_PAD src0_sel:DWORD src1_sel:WORD_1
	v_fma_f16 v6, v5, v1, v6
	v_mul_f16_sdwa v5, v5, v1 dst_sel:DWORD dst_unused:UNUSED_PAD src0_sel:DWORD src1_sel:WORD_1
	v_cvt_f32_f16_e32 v6, v6
	v_fma_f16 v1, v1, v4, -v5
	v_cvt_f32_f16_e32 v1, v1
	v_cvt_f64_f32_e32 v[4:5], v6
	v_cvt_f64_f32_e32 v[6:7], v1
	v_mul_f64 v[4:5], v[4:5], s[12:13]
	v_mul_f64 v[6:7], v[6:7], s[12:13]
	v_and_or_b32 v1, v5, s15, v4
	v_cmp_ne_u32_e32 vcc, 0, v1
	v_and_or_b32 v6, v7, s15, v6
	v_lshrrev_b32_e32 v4, 8, v5
	v_bfe_u32 v10, v5, 20, 11
	v_cndmask_b32_e64 v1, 0, 1, vcc
	v_cmp_ne_u32_e32 vcc, 0, v6
	v_lshrrev_b32_e32 v11, 8, v7
	v_bfe_u32 v12, v7, 20, 11
	v_sub_u32_e32 v13, 0x3f1, v10
	v_cndmask_b32_e64 v6, 0, 1, vcc
	v_and_or_b32 v1, v4, s10, v1
	v_sub_u32_e32 v14, 0x3f1, v12
	v_med3_i32 v4, v13, 0, 13
	v_and_or_b32 v6, v11, s10, v6
	v_or_b32_e32 v13, 0x1000, v1
	v_add_u32_e32 v10, 0xfffffc10, v10
	v_med3_i32 v11, v14, 0, 13
	v_cmp_ne_u32_e32 vcc, 0, v1
	v_or_b32_e32 v15, 0x1000, v6
	v_lshrrev_b32_e32 v17, v4, v13
	v_add_u32_e32 v12, 0xfffffc10, v12
	v_lshl_or_b32 v14, v10, 12, v1
	v_cndmask_b32_e64 v1, 0, 1, vcc
	v_cmp_ne_u32_e32 vcc, 0, v6
	v_lshrrev_b32_e32 v18, v11, v15
	v_lshlrev_b32_e32 v4, v4, v17
	v_lshl_or_b32 v16, v12, 12, v6
	v_cndmask_b32_e64 v6, 0, 1, vcc
	v_lshlrev_b32_e32 v11, v11, v18
	v_cmp_ne_u32_e32 vcc, v4, v13
	v_cndmask_b32_e64 v4, 0, 1, vcc
	v_cmp_ne_u32_e32 vcc, v11, v15
	v_cndmask_b32_e64 v11, 0, 1, vcc
	v_or_b32_e32 v4, v17, v4
	v_cmp_gt_i32_e32 vcc, 1, v10
	v_cndmask_b32_e32 v4, v14, v4, vcc
	v_or_b32_e32 v11, v18, v11
	v_cmp_gt_i32_e32 vcc, 1, v12
	v_and_b32_e32 v13, 7, v4
	v_cndmask_b32_e32 v11, v16, v11, vcc
	v_cmp_lt_i32_e32 vcc, 5, v13
	v_cmp_eq_u32_e64 s[0:1], 3, v13
	v_lshrrev_b32_e32 v4, 2, v4
	v_and_b32_e32 v14, 7, v11
	s_or_b64 vcc, s[0:1], vcc
	v_cmp_lt_i32_e64 s[2:3], 5, v14
	v_cmp_eq_u32_e64 s[4:5], 3, v14
	v_addc_co_u32_e32 v4, vcc, 0, v4, vcc
	v_lshrrev_b32_e32 v11, 2, v11
	s_or_b64 vcc, s[4:5], s[2:3]
	v_addc_co_u32_e32 v11, vcc, 0, v11, vcc
	v_cmp_gt_i32_e32 vcc, 31, v10
	v_cndmask_b32_e32 v4, v2, v4, vcc
	v_cmp_gt_i32_e32 vcc, 31, v12
	v_lshl_or_b32 v1, v1, 9, v2
	v_cndmask_b32_e32 v11, v2, v11, vcc
	v_cmp_eq_u32_e32 vcc, s11, v10
	v_lshrrev_b32_e32 v5, 16, v5
	v_lshl_or_b32 v6, v6, 9, v2
	v_cndmask_b32_e32 v1, v4, v1, vcc
	v_cmp_eq_u32_e32 vcc, s11, v12
	v_lshrrev_b32_e32 v7, 16, v7
	v_cndmask_b32_e32 v4, v11, v6, vcc
	v_and_or_b32 v1, v5, s14, v1
	v_and_or_b32 v4, v7, s14, v4
	v_and_b32_e32 v1, 0xffff, v1
	v_lshl_or_b32 v1, v4, 16, v1
	global_store_dword v[8:9], v1, off
	global_load_dword v1, v[20:21], off offset:1420
	ds_read2_b32 v[4:5], v24 offset0:99 offset1:174
	v_add_co_u32_e32 v8, vcc, s6, v8
	v_addc_co_u32_e32 v9, vcc, v9, v0, vcc
	s_waitcnt lgkmcnt(0)
	v_lshrrev_b32_e32 v6, 16, v4
	s_waitcnt vmcnt(0)
	v_mul_f16_sdwa v7, v6, v1 dst_sel:DWORD dst_unused:UNUSED_PAD src0_sel:DWORD src1_sel:WORD_1
	v_fma_f16 v7, v4, v1, v7
	v_mul_f16_sdwa v4, v4, v1 dst_sel:DWORD dst_unused:UNUSED_PAD src0_sel:DWORD src1_sel:WORD_1
	v_cvt_f32_f16_e32 v7, v7
	v_fma_f16 v1, v1, v6, -v4
	v_cvt_f32_f16_e32 v1, v1
	v_cvt_f64_f32_e32 v[6:7], v7
	v_cvt_f64_f32_e32 v[10:11], v1
	v_mul_f64 v[6:7], v[6:7], s[12:13]
	v_mul_f64 v[10:11], v[10:11], s[12:13]
	v_and_or_b32 v1, v7, s15, v6
	v_cmp_ne_u32_e32 vcc, 0, v1
	v_and_or_b32 v10, v11, s15, v10
	v_lshrrev_b32_e32 v4, 8, v7
	v_bfe_u32 v6, v7, 20, 11
	v_cndmask_b32_e64 v1, 0, 1, vcc
	v_cmp_ne_u32_e32 vcc, 0, v10
	v_lshrrev_b32_e32 v12, 8, v11
	v_bfe_u32 v13, v11, 20, 11
	v_sub_u32_e32 v14, 0x3f1, v6
	v_cndmask_b32_e64 v10, 0, 1, vcc
	v_and_or_b32 v1, v4, s10, v1
	v_sub_u32_e32 v15, 0x3f1, v13
	v_med3_i32 v4, v14, 0, 13
	v_and_or_b32 v10, v12, s10, v10
	v_or_b32_e32 v14, 0x1000, v1
	v_add_u32_e32 v6, 0xfffffc10, v6
	v_med3_i32 v12, v15, 0, 13
	v_cmp_ne_u32_e32 vcc, 0, v1
	v_or_b32_e32 v16, 0x1000, v10
	v_lshrrev_b32_e32 v18, v4, v14
	v_add_u32_e32 v13, 0xfffffc10, v13
	v_lshl_or_b32 v15, v6, 12, v1
	v_cndmask_b32_e64 v1, 0, 1, vcc
	v_cmp_ne_u32_e32 vcc, 0, v10
	v_lshrrev_b32_e32 v19, v12, v16
	v_lshlrev_b32_e32 v4, v4, v18
	v_lshl_or_b32 v17, v13, 12, v10
	v_cndmask_b32_e64 v10, 0, 1, vcc
	v_lshlrev_b32_e32 v12, v12, v19
	v_cmp_ne_u32_e32 vcc, v4, v14
	v_cndmask_b32_e64 v4, 0, 1, vcc
	v_cmp_ne_u32_e32 vcc, v12, v16
	v_cndmask_b32_e64 v12, 0, 1, vcc
	v_or_b32_e32 v4, v18, v4
	v_cmp_gt_i32_e32 vcc, 1, v6
	v_cndmask_b32_e32 v4, v15, v4, vcc
	v_or_b32_e32 v12, v19, v12
	v_cmp_gt_i32_e32 vcc, 1, v13
	v_and_b32_e32 v14, 7, v4
	v_cndmask_b32_e32 v12, v17, v12, vcc
	v_cmp_lt_i32_e32 vcc, 5, v14
	v_cmp_eq_u32_e64 s[0:1], 3, v14
	v_lshrrev_b32_e32 v4, 2, v4
	v_and_b32_e32 v15, 7, v12
	s_or_b64 vcc, s[0:1], vcc
	v_cmp_lt_i32_e64 s[2:3], 5, v15
	v_cmp_eq_u32_e64 s[4:5], 3, v15
	v_addc_co_u32_e32 v4, vcc, 0, v4, vcc
	v_lshrrev_b32_e32 v12, 2, v12
	s_or_b64 vcc, s[4:5], s[2:3]
	v_addc_co_u32_e32 v12, vcc, 0, v12, vcc
	v_cmp_gt_i32_e32 vcc, 31, v6
	v_cndmask_b32_e32 v4, v2, v4, vcc
	v_cmp_gt_i32_e32 vcc, 31, v13
	v_lshl_or_b32 v1, v1, 9, v2
	v_cndmask_b32_e32 v12, v2, v12, vcc
	v_cmp_eq_u32_e32 vcc, s11, v6
	v_lshrrev_b32_e32 v7, 16, v7
	v_lshl_or_b32 v10, v10, 9, v2
	v_cndmask_b32_e32 v1, v4, v1, vcc
	v_cmp_eq_u32_e32 vcc, s11, v13
	v_lshrrev_b32_e32 v11, 16, v11
	v_cndmask_b32_e32 v4, v12, v10, vcc
	v_and_or_b32 v1, v7, s14, v1
	v_and_or_b32 v4, v11, s14, v4
	v_and_b32_e32 v1, 0xffff, v1
	v_lshl_or_b32 v1, v4, 16, v1
	global_store_dword v[8:9], v1, off
	global_load_dword v1, v[20:21], off offset:1720
	v_lshrrev_b32_e32 v4, 16, v5
	v_add_co_u32_e32 v8, vcc, s6, v8
	v_addc_co_u32_e32 v9, vcc, v9, v0, vcc
	s_waitcnt vmcnt(0)
	v_mul_f16_sdwa v6, v4, v1 dst_sel:DWORD dst_unused:UNUSED_PAD src0_sel:DWORD src1_sel:WORD_1
	v_fma_f16 v6, v5, v1, v6
	v_mul_f16_sdwa v5, v5, v1 dst_sel:DWORD dst_unused:UNUSED_PAD src0_sel:DWORD src1_sel:WORD_1
	v_cvt_f32_f16_e32 v6, v6
	v_fma_f16 v1, v1, v4, -v5
	v_cvt_f32_f16_e32 v1, v1
	v_cvt_f64_f32_e32 v[4:5], v6
	v_cvt_f64_f32_e32 v[6:7], v1
	v_mul_f64 v[4:5], v[4:5], s[12:13]
	v_mul_f64 v[6:7], v[6:7], s[12:13]
	v_and_or_b32 v1, v5, s15, v4
	v_cmp_ne_u32_e32 vcc, 0, v1
	v_and_or_b32 v6, v7, s15, v6
	v_lshrrev_b32_e32 v4, 8, v5
	v_bfe_u32 v10, v5, 20, 11
	v_cndmask_b32_e64 v1, 0, 1, vcc
	v_cmp_ne_u32_e32 vcc, 0, v6
	v_lshrrev_b32_e32 v11, 8, v7
	v_bfe_u32 v12, v7, 20, 11
	v_sub_u32_e32 v13, 0x3f1, v10
	v_cndmask_b32_e64 v6, 0, 1, vcc
	v_and_or_b32 v1, v4, s10, v1
	v_sub_u32_e32 v14, 0x3f1, v12
	v_med3_i32 v4, v13, 0, 13
	v_and_or_b32 v6, v11, s10, v6
	v_or_b32_e32 v13, 0x1000, v1
	v_add_u32_e32 v10, 0xfffffc10, v10
	v_med3_i32 v11, v14, 0, 13
	v_cmp_ne_u32_e32 vcc, 0, v1
	v_or_b32_e32 v15, 0x1000, v6
	v_lshrrev_b32_e32 v17, v4, v13
	v_add_u32_e32 v12, 0xfffffc10, v12
	v_lshl_or_b32 v14, v10, 12, v1
	v_cndmask_b32_e64 v1, 0, 1, vcc
	v_cmp_ne_u32_e32 vcc, 0, v6
	v_lshrrev_b32_e32 v18, v11, v15
	v_lshlrev_b32_e32 v4, v4, v17
	v_lshl_or_b32 v16, v12, 12, v6
	v_cndmask_b32_e64 v6, 0, 1, vcc
	v_lshlrev_b32_e32 v11, v11, v18
	v_cmp_ne_u32_e32 vcc, v4, v13
	v_cndmask_b32_e64 v4, 0, 1, vcc
	v_cmp_ne_u32_e32 vcc, v11, v15
	v_cndmask_b32_e64 v11, 0, 1, vcc
	v_or_b32_e32 v4, v17, v4
	v_cmp_gt_i32_e32 vcc, 1, v10
	v_cndmask_b32_e32 v4, v14, v4, vcc
	v_or_b32_e32 v11, v18, v11
	v_cmp_gt_i32_e32 vcc, 1, v12
	v_and_b32_e32 v13, 7, v4
	v_cndmask_b32_e32 v11, v16, v11, vcc
	v_cmp_lt_i32_e32 vcc, 5, v13
	v_cmp_eq_u32_e64 s[0:1], 3, v13
	v_lshrrev_b32_e32 v4, 2, v4
	v_and_b32_e32 v14, 7, v11
	s_or_b64 vcc, s[0:1], vcc
	v_cmp_lt_i32_e64 s[2:3], 5, v14
	v_cmp_eq_u32_e64 s[4:5], 3, v14
	v_addc_co_u32_e32 v4, vcc, 0, v4, vcc
	v_lshrrev_b32_e32 v11, 2, v11
	s_or_b64 vcc, s[4:5], s[2:3]
	v_addc_co_u32_e32 v11, vcc, 0, v11, vcc
	v_cmp_gt_i32_e32 vcc, 31, v10
	v_cndmask_b32_e32 v4, v2, v4, vcc
	v_cmp_gt_i32_e32 vcc, 31, v12
	v_lshl_or_b32 v1, v1, 9, v2
	v_cndmask_b32_e32 v11, v2, v11, vcc
	v_cmp_eq_u32_e32 vcc, s11, v10
	v_lshrrev_b32_e32 v5, 16, v5
	v_lshl_or_b32 v6, v6, 9, v2
	v_cndmask_b32_e32 v1, v4, v1, vcc
	v_cmp_eq_u32_e32 vcc, s11, v12
	v_lshrrev_b32_e32 v7, 16, v7
	v_cndmask_b32_e32 v4, v11, v6, vcc
	v_and_or_b32 v1, v5, s14, v1
	v_and_or_b32 v4, v7, s14, v4
	v_and_b32_e32 v1, 0xffff, v1
	v_lshl_or_b32 v1, v4, 16, v1
	global_store_dword v[8:9], v1, off
	global_load_dword v1, v[20:21], off offset:2020
	ds_read2_b32 v[3:4], v3 offset0:121 offset1:196
	v_add_co_u32_e32 v7, vcc, s6, v8
	v_addc_co_u32_e32 v8, vcc, v9, v0, vcc
	s_waitcnt lgkmcnt(0)
	v_lshrrev_b32_e32 v5, 16, v3
	s_waitcnt vmcnt(0)
	v_mul_f16_sdwa v6, v5, v1 dst_sel:DWORD dst_unused:UNUSED_PAD src0_sel:DWORD src1_sel:WORD_1
	v_fma_f16 v6, v3, v1, v6
	v_mul_f16_sdwa v3, v3, v1 dst_sel:DWORD dst_unused:UNUSED_PAD src0_sel:DWORD src1_sel:WORD_1
	v_cvt_f32_f16_e32 v6, v6
	v_fma_f16 v1, v1, v5, -v3
	v_cvt_f32_f16_e32 v1, v1
	v_cvt_f64_f32_e32 v[5:6], v6
	v_cvt_f64_f32_e32 v[10:11], v1
	v_mul_f64 v[5:6], v[5:6], s[12:13]
	v_mul_f64 v[10:11], v[10:11], s[12:13]
	v_and_or_b32 v1, v6, s15, v5
	v_cmp_ne_u32_e32 vcc, 0, v1
	v_and_or_b32 v9, v11, s15, v10
	v_lshrrev_b32_e32 v3, 8, v6
	v_bfe_u32 v5, v6, 20, 11
	v_cndmask_b32_e64 v1, 0, 1, vcc
	v_cmp_ne_u32_e32 vcc, 0, v9
	v_lshrrev_b32_e32 v10, 8, v11
	v_bfe_u32 v12, v11, 20, 11
	v_sub_u32_e32 v13, 0x3f1, v5
	v_cndmask_b32_e64 v9, 0, 1, vcc
	v_and_or_b32 v1, v3, s10, v1
	v_sub_u32_e32 v14, 0x3f1, v12
	v_med3_i32 v3, v13, 0, 13
	v_and_or_b32 v9, v10, s10, v9
	v_or_b32_e32 v13, 0x1000, v1
	v_add_u32_e32 v5, 0xfffffc10, v5
	v_med3_i32 v10, v14, 0, 13
	v_cmp_ne_u32_e32 vcc, 0, v1
	v_or_b32_e32 v15, 0x1000, v9
	v_lshrrev_b32_e32 v17, v3, v13
	v_add_u32_e32 v12, 0xfffffc10, v12
	v_lshl_or_b32 v14, v5, 12, v1
	v_cndmask_b32_e64 v1, 0, 1, vcc
	v_cmp_ne_u32_e32 vcc, 0, v9
	v_lshrrev_b32_e32 v18, v10, v15
	v_lshlrev_b32_e32 v3, v3, v17
	v_lshl_or_b32 v16, v12, 12, v9
	v_cndmask_b32_e64 v9, 0, 1, vcc
	v_lshlrev_b32_e32 v10, v10, v18
	v_cmp_ne_u32_e32 vcc, v3, v13
	v_cndmask_b32_e64 v3, 0, 1, vcc
	v_cmp_ne_u32_e32 vcc, v10, v15
	v_cndmask_b32_e64 v10, 0, 1, vcc
	v_or_b32_e32 v3, v17, v3
	v_cmp_gt_i32_e32 vcc, 1, v5
	v_cndmask_b32_e32 v3, v14, v3, vcc
	v_or_b32_e32 v10, v18, v10
	v_cmp_gt_i32_e32 vcc, 1, v12
	v_and_b32_e32 v13, 7, v3
	v_cndmask_b32_e32 v10, v16, v10, vcc
	v_cmp_lt_i32_e32 vcc, 5, v13
	v_cmp_eq_u32_e64 s[0:1], 3, v13
	v_lshrrev_b32_e32 v3, 2, v3
	v_and_b32_e32 v14, 7, v10
	s_or_b64 vcc, s[0:1], vcc
	v_cmp_lt_i32_e64 s[2:3], 5, v14
	v_cmp_eq_u32_e64 s[4:5], 3, v14
	v_addc_co_u32_e32 v3, vcc, 0, v3, vcc
	v_lshrrev_b32_e32 v10, 2, v10
	s_or_b64 vcc, s[4:5], s[2:3]
	v_addc_co_u32_e32 v10, vcc, 0, v10, vcc
	v_cmp_gt_i32_e32 vcc, 31, v5
	v_cndmask_b32_e32 v3, v2, v3, vcc
	v_cmp_gt_i32_e32 vcc, 31, v12
	v_lshl_or_b32 v1, v1, 9, v2
	v_cndmask_b32_e32 v10, v2, v10, vcc
	v_cmp_eq_u32_e32 vcc, s11, v5
	v_lshrrev_b32_e32 v6, 16, v6
	v_lshl_or_b32 v9, v9, 9, v2
	v_cndmask_b32_e32 v1, v3, v1, vcc
	v_cmp_eq_u32_e32 vcc, s11, v12
	v_lshrrev_b32_e32 v11, 16, v11
	v_cndmask_b32_e32 v3, v10, v9, vcc
	v_and_or_b32 v1, v6, s14, v1
	v_and_or_b32 v3, v11, s14, v3
	v_and_b32_e32 v1, 0xffff, v1
	v_lshl_or_b32 v1, v3, 16, v1
	global_store_dword v[7:8], v1, off
	global_load_dword v1, v[20:21], off offset:2320
	v_lshrrev_b32_e32 v3, 16, v4
	v_add_co_u32_e32 v7, vcc, s6, v7
	v_addc_co_u32_e32 v8, vcc, v8, v0, vcc
	s_waitcnt vmcnt(0)
	v_mul_f16_sdwa v5, v3, v1 dst_sel:DWORD dst_unused:UNUSED_PAD src0_sel:DWORD src1_sel:WORD_1
	v_fma_f16 v5, v4, v1, v5
	v_mul_f16_sdwa v4, v4, v1 dst_sel:DWORD dst_unused:UNUSED_PAD src0_sel:DWORD src1_sel:WORD_1
	v_cvt_f32_f16_e32 v5, v5
	v_fma_f16 v1, v1, v3, -v4
	v_cvt_f32_f16_e32 v1, v1
	v_cvt_f64_f32_e32 v[3:4], v5
	v_cvt_f64_f32_e32 v[5:6], v1
	v_mul_f64 v[3:4], v[3:4], s[12:13]
	v_mul_f64 v[5:6], v[5:6], s[12:13]
	v_and_or_b32 v1, v4, s15, v3
	v_cmp_ne_u32_e32 vcc, 0, v1
	v_and_or_b32 v5, v6, s15, v5
	v_lshrrev_b32_e32 v3, 8, v4
	v_bfe_u32 v9, v4, 20, 11
	v_cndmask_b32_e64 v1, 0, 1, vcc
	v_cmp_ne_u32_e32 vcc, 0, v5
	v_lshrrev_b32_e32 v10, 8, v6
	v_bfe_u32 v11, v6, 20, 11
	v_sub_u32_e32 v12, 0x3f1, v9
	v_cndmask_b32_e64 v5, 0, 1, vcc
	v_and_or_b32 v1, v3, s10, v1
	v_sub_u32_e32 v13, 0x3f1, v11
	v_med3_i32 v3, v12, 0, 13
	v_and_or_b32 v5, v10, s10, v5
	v_or_b32_e32 v12, 0x1000, v1
	v_add_u32_e32 v9, 0xfffffc10, v9
	v_med3_i32 v10, v13, 0, 13
	v_cmp_ne_u32_e32 vcc, 0, v1
	v_or_b32_e32 v14, 0x1000, v5
	v_lshrrev_b32_e32 v16, v3, v12
	v_add_u32_e32 v11, 0xfffffc10, v11
	v_lshl_or_b32 v13, v9, 12, v1
	v_cndmask_b32_e64 v1, 0, 1, vcc
	v_cmp_ne_u32_e32 vcc, 0, v5
	v_lshrrev_b32_e32 v17, v10, v14
	v_lshlrev_b32_e32 v3, v3, v16
	v_lshl_or_b32 v15, v11, 12, v5
	v_cndmask_b32_e64 v5, 0, 1, vcc
	v_lshlrev_b32_e32 v10, v10, v17
	v_cmp_ne_u32_e32 vcc, v3, v12
	v_cndmask_b32_e64 v3, 0, 1, vcc
	v_cmp_ne_u32_e32 vcc, v10, v14
	v_cndmask_b32_e64 v10, 0, 1, vcc
	v_or_b32_e32 v3, v16, v3
	v_cmp_gt_i32_e32 vcc, 1, v9
	v_cndmask_b32_e32 v3, v13, v3, vcc
	v_or_b32_e32 v10, v17, v10
	v_cmp_gt_i32_e32 vcc, 1, v11
	v_and_b32_e32 v12, 7, v3
	v_cndmask_b32_e32 v10, v15, v10, vcc
	v_cmp_lt_i32_e32 vcc, 5, v12
	v_cmp_eq_u32_e64 s[0:1], 3, v12
	v_lshrrev_b32_e32 v3, 2, v3
	v_and_b32_e32 v13, 7, v10
	s_or_b64 vcc, s[0:1], vcc
	v_cmp_lt_i32_e64 s[2:3], 5, v13
	v_cmp_eq_u32_e64 s[4:5], 3, v13
	v_addc_co_u32_e32 v3, vcc, 0, v3, vcc
	v_lshrrev_b32_e32 v10, 2, v10
	s_or_b64 vcc, s[4:5], s[2:3]
	v_addc_co_u32_e32 v10, vcc, 0, v10, vcc
	v_cmp_gt_i32_e32 vcc, 31, v9
	v_cndmask_b32_e32 v3, v2, v3, vcc
	v_cmp_gt_i32_e32 vcc, 31, v11
	v_lshl_or_b32 v1, v1, 9, v2
	v_cndmask_b32_e32 v10, v2, v10, vcc
	v_cmp_eq_u32_e32 vcc, s11, v9
	v_lshrrev_b32_e32 v4, 16, v4
	v_lshl_or_b32 v5, v5, 9, v2
	v_cndmask_b32_e32 v1, v3, v1, vcc
	v_cmp_eq_u32_e32 vcc, s11, v11
	v_lshrrev_b32_e32 v6, 16, v6
	v_cndmask_b32_e32 v3, v10, v5, vcc
	v_and_or_b32 v1, v4, s14, v1
	v_and_or_b32 v3, v6, s14, v3
	v_and_b32_e32 v1, 0xffff, v1
	v_lshl_or_b32 v1, v3, 16, v1
	global_store_dword v[7:8], v1, off
	global_load_dword v1, v[20:21], off offset:2620
	ds_read2_b32 v[3:4], v23 offset0:143 offset1:218
	v_add_co_u32_e32 v7, vcc, s6, v7
	v_addc_co_u32_e32 v8, vcc, v8, v0, vcc
	s_waitcnt lgkmcnt(0)
	v_lshrrev_b32_e32 v5, 16, v3
	s_waitcnt vmcnt(0)
	v_mul_f16_sdwa v6, v5, v1 dst_sel:DWORD dst_unused:UNUSED_PAD src0_sel:DWORD src1_sel:WORD_1
	v_fma_f16 v6, v3, v1, v6
	v_mul_f16_sdwa v3, v3, v1 dst_sel:DWORD dst_unused:UNUSED_PAD src0_sel:DWORD src1_sel:WORD_1
	v_cvt_f32_f16_e32 v6, v6
	v_fma_f16 v1, v1, v5, -v3
	v_cvt_f32_f16_e32 v1, v1
	v_cvt_f64_f32_e32 v[5:6], v6
	v_cvt_f64_f32_e32 v[9:10], v1
	v_mul_f64 v[5:6], v[5:6], s[12:13]
	v_mul_f64 v[9:10], v[9:10], s[12:13]
	v_and_or_b32 v1, v6, s15, v5
	v_cmp_ne_u32_e32 vcc, 0, v1
	v_and_or_b32 v9, v10, s15, v9
	v_lshrrev_b32_e32 v3, 8, v6
	v_bfe_u32 v5, v6, 20, 11
	v_cndmask_b32_e64 v1, 0, 1, vcc
	v_cmp_ne_u32_e32 vcc, 0, v9
	v_lshrrev_b32_e32 v11, 8, v10
	v_bfe_u32 v12, v10, 20, 11
	v_sub_u32_e32 v13, 0x3f1, v5
	v_cndmask_b32_e64 v9, 0, 1, vcc
	v_and_or_b32 v1, v3, s10, v1
	v_sub_u32_e32 v14, 0x3f1, v12
	v_med3_i32 v3, v13, 0, 13
	v_and_or_b32 v9, v11, s10, v9
	v_or_b32_e32 v13, 0x1000, v1
	v_add_u32_e32 v5, 0xfffffc10, v5
	v_med3_i32 v11, v14, 0, 13
	v_cmp_ne_u32_e32 vcc, 0, v1
	v_or_b32_e32 v15, 0x1000, v9
	v_lshrrev_b32_e32 v17, v3, v13
	v_add_u32_e32 v12, 0xfffffc10, v12
	v_lshl_or_b32 v14, v5, 12, v1
	v_cndmask_b32_e64 v1, 0, 1, vcc
	v_cmp_ne_u32_e32 vcc, 0, v9
	v_lshrrev_b32_e32 v18, v11, v15
	v_lshlrev_b32_e32 v3, v3, v17
	v_lshl_or_b32 v16, v12, 12, v9
	v_cndmask_b32_e64 v9, 0, 1, vcc
	v_lshlrev_b32_e32 v11, v11, v18
	v_cmp_ne_u32_e32 vcc, v3, v13
	v_cndmask_b32_e64 v3, 0, 1, vcc
	v_cmp_ne_u32_e32 vcc, v11, v15
	v_cndmask_b32_e64 v11, 0, 1, vcc
	v_or_b32_e32 v3, v17, v3
	v_cmp_gt_i32_e32 vcc, 1, v5
	v_cndmask_b32_e32 v3, v14, v3, vcc
	v_or_b32_e32 v11, v18, v11
	v_cmp_gt_i32_e32 vcc, 1, v12
	v_and_b32_e32 v13, 7, v3
	v_cndmask_b32_e32 v11, v16, v11, vcc
	v_cmp_lt_i32_e32 vcc, 5, v13
	v_cmp_eq_u32_e64 s[0:1], 3, v13
	v_lshrrev_b32_e32 v3, 2, v3
	v_and_b32_e32 v14, 7, v11
	s_or_b64 vcc, s[0:1], vcc
	v_cmp_lt_i32_e64 s[2:3], 5, v14
	v_cmp_eq_u32_e64 s[4:5], 3, v14
	v_addc_co_u32_e32 v3, vcc, 0, v3, vcc
	v_lshrrev_b32_e32 v11, 2, v11
	s_or_b64 vcc, s[4:5], s[2:3]
	v_addc_co_u32_e32 v11, vcc, 0, v11, vcc
	v_cmp_gt_i32_e32 vcc, 31, v5
	v_cndmask_b32_e32 v3, v2, v3, vcc
	v_cmp_gt_i32_e32 vcc, 31, v12
	v_lshl_or_b32 v1, v1, 9, v2
	v_cndmask_b32_e32 v11, v2, v11, vcc
	v_cmp_eq_u32_e32 vcc, s11, v5
	v_lshrrev_b32_e32 v6, 16, v6
	v_lshl_or_b32 v9, v9, 9, v2
	v_cndmask_b32_e32 v1, v3, v1, vcc
	v_cmp_eq_u32_e32 vcc, s11, v12
	v_lshrrev_b32_e32 v10, 16, v10
	v_cndmask_b32_e32 v3, v11, v9, vcc
	v_and_or_b32 v1, v6, s14, v1
	v_and_or_b32 v3, v10, s14, v3
	v_and_b32_e32 v1, 0xffff, v1
	v_lshl_or_b32 v1, v3, 16, v1
	global_store_dword v[7:8], v1, off
	global_load_dword v1, v[20:21], off offset:2920
	v_lshrrev_b32_e32 v3, 16, v4
	v_add_co_u32_e32 v7, vcc, s6, v7
	v_addc_co_u32_e32 v8, vcc, v8, v0, vcc
	s_waitcnt vmcnt(0)
	v_mul_f16_sdwa v5, v3, v1 dst_sel:DWORD dst_unused:UNUSED_PAD src0_sel:DWORD src1_sel:WORD_1
	v_fma_f16 v5, v4, v1, v5
	v_mul_f16_sdwa v4, v4, v1 dst_sel:DWORD dst_unused:UNUSED_PAD src0_sel:DWORD src1_sel:WORD_1
	v_cvt_f32_f16_e32 v5, v5
	v_fma_f16 v1, v1, v3, -v4
	v_cvt_f32_f16_e32 v1, v1
	v_cvt_f64_f32_e32 v[3:4], v5
	v_cvt_f64_f32_e32 v[5:6], v1
	v_mul_f64 v[3:4], v[3:4], s[12:13]
	v_mul_f64 v[5:6], v[5:6], s[12:13]
	v_and_or_b32 v1, v4, s15, v3
	v_cmp_ne_u32_e32 vcc, 0, v1
	v_and_or_b32 v5, v6, s15, v5
	v_lshrrev_b32_e32 v3, 8, v4
	v_bfe_u32 v9, v4, 20, 11
	v_cndmask_b32_e64 v1, 0, 1, vcc
	v_cmp_ne_u32_e32 vcc, 0, v5
	v_lshrrev_b32_e32 v10, 8, v6
	v_bfe_u32 v11, v6, 20, 11
	v_sub_u32_e32 v12, 0x3f1, v9
	v_cndmask_b32_e64 v5, 0, 1, vcc
	v_and_or_b32 v1, v3, s10, v1
	v_sub_u32_e32 v13, 0x3f1, v11
	v_med3_i32 v3, v12, 0, 13
	v_and_or_b32 v5, v10, s10, v5
	v_or_b32_e32 v12, 0x1000, v1
	v_add_u32_e32 v9, 0xfffffc10, v9
	v_med3_i32 v10, v13, 0, 13
	v_cmp_ne_u32_e32 vcc, 0, v1
	v_or_b32_e32 v14, 0x1000, v5
	v_lshrrev_b32_e32 v16, v3, v12
	v_add_u32_e32 v11, 0xfffffc10, v11
	v_lshl_or_b32 v13, v9, 12, v1
	v_cndmask_b32_e64 v1, 0, 1, vcc
	v_cmp_ne_u32_e32 vcc, 0, v5
	v_lshrrev_b32_e32 v17, v10, v14
	v_lshlrev_b32_e32 v3, v3, v16
	v_lshl_or_b32 v15, v11, 12, v5
	v_cndmask_b32_e64 v5, 0, 1, vcc
	v_lshlrev_b32_e32 v10, v10, v17
	v_cmp_ne_u32_e32 vcc, v3, v12
	v_cndmask_b32_e64 v3, 0, 1, vcc
	v_cmp_ne_u32_e32 vcc, v10, v14
	v_cndmask_b32_e64 v10, 0, 1, vcc
	v_or_b32_e32 v3, v16, v3
	v_cmp_gt_i32_e32 vcc, 1, v9
	v_cndmask_b32_e32 v3, v13, v3, vcc
	v_or_b32_e32 v10, v17, v10
	v_cmp_gt_i32_e32 vcc, 1, v11
	v_and_b32_e32 v12, 7, v3
	v_cndmask_b32_e32 v10, v15, v10, vcc
	v_cmp_lt_i32_e32 vcc, 5, v12
	v_cmp_eq_u32_e64 s[0:1], 3, v12
	v_lshrrev_b32_e32 v3, 2, v3
	v_and_b32_e32 v13, 7, v10
	s_or_b64 vcc, s[0:1], vcc
	v_cmp_lt_i32_e64 s[2:3], 5, v13
	v_cmp_eq_u32_e64 s[4:5], 3, v13
	v_addc_co_u32_e32 v3, vcc, 0, v3, vcc
	v_lshrrev_b32_e32 v10, 2, v10
	s_or_b64 vcc, s[4:5], s[2:3]
	v_addc_co_u32_e32 v10, vcc, 0, v10, vcc
	v_cmp_gt_i32_e32 vcc, 31, v9
	v_cndmask_b32_e32 v3, v2, v3, vcc
	v_cmp_gt_i32_e32 vcc, 31, v11
	v_lshl_or_b32 v1, v1, 9, v2
	v_cndmask_b32_e32 v10, v2, v10, vcc
	v_cmp_eq_u32_e32 vcc, s11, v9
	v_lshrrev_b32_e32 v4, 16, v4
	v_lshl_or_b32 v5, v5, 9, v2
	v_cndmask_b32_e32 v1, v3, v1, vcc
	v_cmp_eq_u32_e32 vcc, s11, v11
	v_lshrrev_b32_e32 v6, 16, v6
	v_cndmask_b32_e32 v3, v10, v5, vcc
	v_and_or_b32 v1, v4, s14, v1
	v_and_or_b32 v3, v6, s14, v3
	v_and_b32_e32 v1, 0xffff, v1
	v_lshl_or_b32 v1, v3, 16, v1
	global_store_dword v[7:8], v1, off
	global_load_dword v1, v[20:21], off offset:3220
	ds_read_b32 v3, v53 offset:3220
	s_waitcnt lgkmcnt(0)
	v_lshrrev_b32_e32 v4, 16, v3
	s_waitcnt vmcnt(0)
	v_mul_f16_sdwa v5, v4, v1 dst_sel:DWORD dst_unused:UNUSED_PAD src0_sel:DWORD src1_sel:WORD_1
	v_fma_f16 v5, v3, v1, v5
	v_mul_f16_sdwa v3, v3, v1 dst_sel:DWORD dst_unused:UNUSED_PAD src0_sel:DWORD src1_sel:WORD_1
	v_cvt_f32_f16_e32 v5, v5
	v_fma_f16 v1, v1, v4, -v3
	v_cvt_f32_f16_e32 v1, v1
	v_cvt_f64_f32_e32 v[3:4], v5
	v_cvt_f64_f32_e32 v[5:6], v1
	v_mul_f64 v[3:4], v[3:4], s[12:13]
	v_mul_f64 v[5:6], v[5:6], s[12:13]
	v_and_or_b32 v1, v4, s15, v3
	v_cmp_ne_u32_e32 vcc, 0, v1
	v_and_or_b32 v5, v6, s15, v5
	v_lshrrev_b32_e32 v3, 8, v4
	v_bfe_u32 v9, v4, 20, 11
	v_cndmask_b32_e64 v1, 0, 1, vcc
	v_cmp_ne_u32_e32 vcc, 0, v5
	v_lshrrev_b32_e32 v10, 8, v6
	v_bfe_u32 v11, v6, 20, 11
	v_sub_u32_e32 v12, 0x3f1, v9
	v_cndmask_b32_e64 v5, 0, 1, vcc
	v_and_or_b32 v1, v3, s10, v1
	v_sub_u32_e32 v13, 0x3f1, v11
	v_med3_i32 v3, v12, 0, 13
	v_and_or_b32 v5, v10, s10, v5
	v_or_b32_e32 v12, 0x1000, v1
	v_add_u32_e32 v9, 0xfffffc10, v9
	v_med3_i32 v10, v13, 0, 13
	v_cmp_ne_u32_e32 vcc, 0, v1
	v_or_b32_e32 v14, 0x1000, v5
	v_lshrrev_b32_e32 v16, v3, v12
	v_add_u32_e32 v11, 0xfffffc10, v11
	v_lshl_or_b32 v13, v9, 12, v1
	v_cndmask_b32_e64 v1, 0, 1, vcc
	v_cmp_ne_u32_e32 vcc, 0, v5
	v_lshrrev_b32_e32 v17, v10, v14
	v_lshlrev_b32_e32 v3, v3, v16
	v_lshl_or_b32 v15, v11, 12, v5
	v_cndmask_b32_e64 v5, 0, 1, vcc
	v_lshlrev_b32_e32 v10, v10, v17
	v_cmp_ne_u32_e32 vcc, v3, v12
	v_cndmask_b32_e64 v3, 0, 1, vcc
	v_cmp_ne_u32_e32 vcc, v10, v14
	v_cndmask_b32_e64 v10, 0, 1, vcc
	v_or_b32_e32 v3, v16, v3
	v_cmp_gt_i32_e32 vcc, 1, v9
	v_cndmask_b32_e32 v3, v13, v3, vcc
	v_or_b32_e32 v10, v17, v10
	v_cmp_gt_i32_e32 vcc, 1, v11
	v_and_b32_e32 v12, 7, v3
	v_cndmask_b32_e32 v10, v15, v10, vcc
	v_cmp_lt_i32_e32 vcc, 5, v12
	v_cmp_eq_u32_e64 s[0:1], 3, v12
	v_lshrrev_b32_e32 v3, 2, v3
	v_and_b32_e32 v13, 7, v10
	s_or_b64 vcc, s[0:1], vcc
	v_cmp_lt_i32_e64 s[2:3], 5, v13
	v_cmp_eq_u32_e64 s[4:5], 3, v13
	v_addc_co_u32_e32 v3, vcc, 0, v3, vcc
	v_lshrrev_b32_e32 v10, 2, v10
	s_or_b64 vcc, s[4:5], s[2:3]
	v_addc_co_u32_e32 v10, vcc, 0, v10, vcc
	v_cmp_gt_i32_e32 vcc, 31, v9
	v_cndmask_b32_e32 v3, v2, v3, vcc
	v_cmp_gt_i32_e32 vcc, 31, v11
	v_lshl_or_b32 v1, v1, 9, v2
	v_lshl_or_b32 v5, v5, 9, v2
	v_cndmask_b32_e32 v2, v2, v10, vcc
	v_cmp_eq_u32_e32 vcc, s11, v9
	v_lshrrev_b32_e32 v4, 16, v4
	v_cndmask_b32_e32 v1, v3, v1, vcc
	v_cmp_eq_u32_e32 vcc, s11, v11
	v_lshrrev_b32_e32 v6, 16, v6
	v_cndmask_b32_e32 v2, v2, v5, vcc
	v_and_or_b32 v1, v4, s14, v1
	v_and_or_b32 v2, v6, s14, v2
	v_and_b32_e32 v1, 0xffff, v1
	v_lshl_or_b32 v3, v2, 16, v1
	v_add_co_u32_e32 v1, vcc, s6, v7
	v_addc_co_u32_e32 v2, vcc, v8, v0, vcc
	global_store_dword v[1:2], v3, off
.LBB0_15:
	s_endpgm
	.section	.rodata,"a",@progbits
	.p2align	6, 0x0
	.amdhsa_kernel bluestein_single_back_len825_dim1_half_op_CI_CI
		.amdhsa_group_segment_fixed_size 3300
		.amdhsa_private_segment_fixed_size 0
		.amdhsa_kernarg_size 104
		.amdhsa_user_sgpr_count 6
		.amdhsa_user_sgpr_private_segment_buffer 1
		.amdhsa_user_sgpr_dispatch_ptr 0
		.amdhsa_user_sgpr_queue_ptr 0
		.amdhsa_user_sgpr_kernarg_segment_ptr 1
		.amdhsa_user_sgpr_dispatch_id 0
		.amdhsa_user_sgpr_flat_scratch_init 0
		.amdhsa_user_sgpr_private_segment_size 0
		.amdhsa_uses_dynamic_stack 0
		.amdhsa_system_sgpr_private_segment_wavefront_offset 0
		.amdhsa_system_sgpr_workgroup_id_x 1
		.amdhsa_system_sgpr_workgroup_id_y 0
		.amdhsa_system_sgpr_workgroup_id_z 0
		.amdhsa_system_sgpr_workgroup_info 0
		.amdhsa_system_vgpr_workitem_id 0
		.amdhsa_next_free_vgpr 143
		.amdhsa_next_free_sgpr 27
		.amdhsa_reserve_vcc 1
		.amdhsa_reserve_flat_scratch 0
		.amdhsa_float_round_mode_32 0
		.amdhsa_float_round_mode_16_64 0
		.amdhsa_float_denorm_mode_32 3
		.amdhsa_float_denorm_mode_16_64 3
		.amdhsa_dx10_clamp 1
		.amdhsa_ieee_mode 1
		.amdhsa_fp16_overflow 0
		.amdhsa_exception_fp_ieee_invalid_op 0
		.amdhsa_exception_fp_denorm_src 0
		.amdhsa_exception_fp_ieee_div_zero 0
		.amdhsa_exception_fp_ieee_overflow 0
		.amdhsa_exception_fp_ieee_underflow 0
		.amdhsa_exception_fp_ieee_inexact 0
		.amdhsa_exception_int_div_zero 0
	.end_amdhsa_kernel
	.text
.Lfunc_end0:
	.size	bluestein_single_back_len825_dim1_half_op_CI_CI, .Lfunc_end0-bluestein_single_back_len825_dim1_half_op_CI_CI
                                        ; -- End function
	.section	.AMDGPU.csdata,"",@progbits
; Kernel info:
; codeLenInByte = 34172
; NumSgprs: 31
; NumVgprs: 143
; ScratchSize: 0
; MemoryBound: 0
; FloatMode: 240
; IeeeMode: 1
; LDSByteSize: 3300 bytes/workgroup (compile time only)
; SGPRBlocks: 3
; VGPRBlocks: 35
; NumSGPRsForWavesPerEU: 31
; NumVGPRsForWavesPerEU: 143
; Occupancy: 1
; WaveLimiterHint : 1
; COMPUTE_PGM_RSRC2:SCRATCH_EN: 0
; COMPUTE_PGM_RSRC2:USER_SGPR: 6
; COMPUTE_PGM_RSRC2:TRAP_HANDLER: 0
; COMPUTE_PGM_RSRC2:TGID_X_EN: 1
; COMPUTE_PGM_RSRC2:TGID_Y_EN: 0
; COMPUTE_PGM_RSRC2:TGID_Z_EN: 0
; COMPUTE_PGM_RSRC2:TIDIG_COMP_CNT: 0
	.type	__hip_cuid_5f53a84d7c6edb1c,@object ; @__hip_cuid_5f53a84d7c6edb1c
	.section	.bss,"aw",@nobits
	.globl	__hip_cuid_5f53a84d7c6edb1c
__hip_cuid_5f53a84d7c6edb1c:
	.byte	0                               ; 0x0
	.size	__hip_cuid_5f53a84d7c6edb1c, 1

	.ident	"AMD clang version 19.0.0git (https://github.com/RadeonOpenCompute/llvm-project roc-6.4.0 25133 c7fe45cf4b819c5991fe208aaa96edf142730f1d)"
	.section	".note.GNU-stack","",@progbits
	.addrsig
	.addrsig_sym __hip_cuid_5f53a84d7c6edb1c
	.amdgpu_metadata
---
amdhsa.kernels:
  - .args:
      - .actual_access:  read_only
        .address_space:  global
        .offset:         0
        .size:           8
        .value_kind:     global_buffer
      - .actual_access:  read_only
        .address_space:  global
        .offset:         8
        .size:           8
        .value_kind:     global_buffer
      - .actual_access:  read_only
        .address_space:  global
        .offset:         16
        .size:           8
        .value_kind:     global_buffer
      - .actual_access:  read_only
        .address_space:  global
        .offset:         24
        .size:           8
        .value_kind:     global_buffer
      - .actual_access:  read_only
        .address_space:  global
        .offset:         32
        .size:           8
        .value_kind:     global_buffer
      - .offset:         40
        .size:           8
        .value_kind:     by_value
      - .address_space:  global
        .offset:         48
        .size:           8
        .value_kind:     global_buffer
      - .address_space:  global
        .offset:         56
        .size:           8
        .value_kind:     global_buffer
      - .address_space:  global
        .offset:         64
        .size:           8
        .value_kind:     global_buffer
      - .address_space:  global
        .offset:         72
        .size:           8
        .value_kind:     global_buffer
      - .offset:         80
        .size:           4
        .value_kind:     by_value
      - .address_space:  global
        .offset:         88
        .size:           8
        .value_kind:     global_buffer
      - .address_space:  global
        .offset:         96
        .size:           8
        .value_kind:     global_buffer
    .group_segment_fixed_size: 3300
    .kernarg_segment_align: 8
    .kernarg_segment_size: 104
    .language:       OpenCL C
    .language_version:
      - 2
      - 0
    .max_flat_workgroup_size: 55
    .name:           bluestein_single_back_len825_dim1_half_op_CI_CI
    .private_segment_fixed_size: 0
    .sgpr_count:     31
    .sgpr_spill_count: 0
    .symbol:         bluestein_single_back_len825_dim1_half_op_CI_CI.kd
    .uniform_work_group_size: 1
    .uses_dynamic_stack: false
    .vgpr_count:     143
    .vgpr_spill_count: 0
    .wavefront_size: 64
amdhsa.target:   amdgcn-amd-amdhsa--gfx906
amdhsa.version:
  - 1
  - 2
...

	.end_amdgpu_metadata
